;; amdgpu-corpus repo=ROCm/rocFFT kind=compiled arch=gfx1201 opt=O3
	.text
	.amdgcn_target "amdgcn-amd-amdhsa--gfx1201"
	.amdhsa_code_object_version 6
	.protected	bluestein_single_fwd_len1089_dim1_half_op_CI_CI ; -- Begin function bluestein_single_fwd_len1089_dim1_half_op_CI_CI
	.globl	bluestein_single_fwd_len1089_dim1_half_op_CI_CI
	.p2align	8
	.type	bluestein_single_fwd_len1089_dim1_half_op_CI_CI,@function
bluestein_single_fwd_len1089_dim1_half_op_CI_CI: ; @bluestein_single_fwd_len1089_dim1_half_op_CI_CI
; %bb.0:
	s_load_b128 s[16:19], s[0:1], 0x28
	v_mul_u32_u24_e32 v1, 0x21e, v0
	s_mov_b32 s2, exec_lo
	v_mov_b32_e32 v17, 0
	s_delay_alu instid0(VALU_DEP_2) | instskip(NEXT) | instid1(VALU_DEP_1)
	v_lshrrev_b32_e32 v1, 16, v1
	v_add_nc_u32_e32 v16, ttmp9, v1
	s_wait_kmcnt 0x0
	s_delay_alu instid0(VALU_DEP_1)
	v_cmpx_gt_u64_e64 s[16:17], v[16:17]
	s_cbranch_execz .LBB0_18
; %bb.1:
	s_clause 0x1
	s_load_b128 s[4:7], s[0:1], 0x18
	s_load_b128 s[8:11], s[0:1], 0x0
	v_mul_lo_u16 v1, 0x79, v1
                                        ; implicit-def: $vgpr82
                                        ; implicit-def: $vgpr61
                                        ; implicit-def: $vgpr83
	s_delay_alu instid0(VALU_DEP_1) | instskip(NEXT) | instid1(VALU_DEP_1)
	v_sub_nc_u16 v10, v0, v1
	v_and_b32_e32 v52, 0xffff, v10
	v_mul_lo_u16 v13, v10, 3
	s_wait_kmcnt 0x0
	s_load_b128 s[12:15], s[4:5], 0x0
	s_wait_kmcnt 0x0
	v_mad_co_u64_u32 v[0:1], null, s14, v16, 0
	v_mad_co_u64_u32 v[2:3], null, s12, v52, 0
	s_mul_u64 s[2:3], s[12:13], 0x5ac
	s_mul_i32 s4, s13, 0xfffff68c
	s_delay_alu instid0(SALU_CYCLE_1) | instskip(NEXT) | instid1(VALU_DEP_1)
	s_sub_co_i32 s4, s4, s12
	v_mad_co_u64_u32 v[4:5], null, s15, v16, v[1:2]
	s_delay_alu instid0(VALU_DEP_1) | instskip(NEXT) | instid1(VALU_DEP_3)
	v_mov_b32_e32 v1, v4
	v_mad_co_u64_u32 v[5:6], null, s13, v52, v[3:4]
	v_lshlrev_b32_e32 v40, 2, v52
	s_clause 0x1
	global_load_b32 v54, v40, s[8:9]
	global_load_b32 v50, v40, s[8:9] offset:484
	v_mov_b32_e32 v3, v5
	v_lshlrev_b64_e32 v[0:1], 2, v[0:1]
	s_clause 0x6
	global_load_b32 v56, v40, s[8:9] offset:1452
	global_load_b32 v48, v40, s[8:9] offset:1936
	;; [unrolled: 1-line block ×7, first 2 shown]
	v_lshlrev_b64_e32 v[2:3], 2, v[2:3]
	v_add_nc_u32_e32 v15, 0xa00, v40
	v_add_co_u32 v0, vcc_lo, s18, v0
	v_add_co_ci_u32_e32 v1, vcc_lo, s19, v1, vcc_lo
	v_add_nc_u32_e32 v14, 0x600, v40
	s_delay_alu instid0(VALU_DEP_3) | instskip(SKIP_1) | instid1(VALU_DEP_3)
	v_add_co_u32 v0, vcc_lo, v0, v2
	s_wait_alu 0xfffd
	v_add_co_ci_u32_e32 v1, vcc_lo, v1, v3, vcc_lo
	s_delay_alu instid0(VALU_DEP_2) | instskip(SKIP_1) | instid1(VALU_DEP_2)
	v_add_co_u32 v2, vcc_lo, v0, s2
	s_wait_alu 0xfffd
	v_add_co_ci_u32_e32 v3, vcc_lo, s3, v1, vcc_lo
	global_load_b32 v8, v[0:1], off
	v_add_co_u32 v4, vcc_lo, v2, s2
	s_wait_alu 0xfffd
	v_add_co_ci_u32_e32 v5, vcc_lo, s3, v3, vcc_lo
	s_clause 0x1
	global_load_b32 v9, v[2:3], off
	global_load_b32 v11, v[4:5], off
	v_mad_co_u64_u32 v[6:7], null, 0xfffff68c, s12, v[4:5]
	s_delay_alu instid0(VALU_DEP_1) | instskip(NEXT) | instid1(VALU_DEP_2)
	v_add_nc_u32_e32 v7, s4, v7
	v_add_co_u32 v0, vcc_lo, v6, s2
	s_wait_alu 0xfffd
	s_delay_alu instid0(VALU_DEP_2) | instskip(NEXT) | instid1(VALU_DEP_2)
	v_add_co_ci_u32_e32 v1, vcc_lo, s3, v7, vcc_lo
	v_add_co_u32 v2, vcc_lo, v0, s2
	global_load_b32 v6, v[6:7], off
	s_wait_alu 0xfffd
	v_add_co_ci_u32_e32 v3, vcc_lo, s3, v1, vcc_lo
	global_load_b32 v7, v[0:1], off
	v_mad_co_u64_u32 v[4:5], null, 0xfffff68c, s12, v[2:3]
	global_load_b32 v12, v[2:3], off
	v_add_nc_u32_e32 v5, s4, v5
	v_add_co_u32 v0, vcc_lo, v4, s2
	s_wait_alu 0xfffd
	s_delay_alu instid0(VALU_DEP_2) | instskip(NEXT) | instid1(VALU_DEP_2)
	v_add_co_ci_u32_e32 v1, vcc_lo, s3, v5, vcc_lo
	v_add_co_u32 v2, vcc_lo, v0, s2
	global_load_b32 v4, v[4:5], off
	s_wait_alu 0xfffd
	v_add_co_ci_u32_e32 v3, vcc_lo, s3, v1, vcc_lo
	global_load_b32 v5, v[0:1], off
	global_load_b32 v2, v[2:3], off
	v_add_nc_u32_e32 v1, 0x200, v40
	s_load_b64 s[2:3], s[0:1], 0x38
	v_add_co_u32 v21, s0, 0x79, v52
	s_wait_alu 0xf1ff
	v_add_co_ci_u32_e64 v0, null, 0, 0, s0
	s_load_b128 s[4:7], s[6:7], 0x0
	v_add_nc_u32_e32 v0, 0xc00, v40
	v_cmp_gt_u16_e32 vcc_lo, 0x63, v10
	s_wait_loadcnt 0x11
	v_lshrrev_b32_e32 v59, 16, v54
	s_wait_loadcnt 0x10
	v_lshrrev_b32_e32 v53, 16, v50
	;; [unrolled: 2-line block ×4, first 2 shown]
	v_lshrrev_b32_e32 v51, 16, v48
	v_lshrrev_b32_e32 v49, 16, v47
	s_wait_loadcnt 0xa
	v_lshrrev_b32_e32 v46, 16, v45
	v_lshrrev_b32_e32 v44, 16, v43
	s_wait_loadcnt 0x9
	v_lshrrev_b32_e32 v42, 16, v41
	s_wait_loadcnt 0x8
	v_lshrrev_b32_e32 v3, 16, v8
	v_mul_f16_e32 v17, v59, v8
	s_delay_alu instid0(VALU_DEP_2) | instskip(SKIP_2) | instid1(VALU_DEP_3)
	v_mul_f16_e32 v19, v59, v3
	s_wait_loadcnt 0x7
	v_lshrrev_b32_e32 v18, 16, v9
	v_fma_f16 v3, v54, v3, -v17
	s_wait_loadcnt 0x6
	v_lshrrev_b32_e32 v17, 16, v11
	v_mul_f16_e32 v20, v58, v9
	v_mul_f16_e32 v23, v57, v11
	;; [unrolled: 1-line block ×3, first 2 shown]
	v_fmac_f16_e32 v19, v54, v8
	v_mul_f16_e32 v8, v57, v17
	v_fma_f16 v18, v56, v18, -v20
	s_delay_alu instid0(VALU_DEP_4) | instskip(SKIP_1) | instid1(VALU_DEP_4)
	v_fmac_f16_e32 v22, v56, v9
	v_fma_f16 v9, v55, v17, -v23
	v_fmac_f16_e32 v8, v55, v11
	v_pack_b32_f16 v3, v19, v3
	s_delay_alu instid0(VALU_DEP_4) | instskip(NEXT) | instid1(VALU_DEP_3)
	v_pack_b32_f16 v11, v22, v18
	v_pack_b32_f16 v8, v8, v9
	s_wait_loadcnt 0x5
	v_lshrrev_b32_e32 v17, 16, v6
	v_mul_f16_e32 v18, v53, v6
	s_wait_loadcnt 0x4
	v_lshrrev_b32_e32 v9, 16, v7
	v_mul_f16_e32 v20, v51, v7
	v_mul_f16_e32 v19, v53, v17
	v_fma_f16 v17, v50, v17, -v18
	s_delay_alu instid0(VALU_DEP_4) | instskip(NEXT) | instid1(VALU_DEP_4)
	v_mul_f16_e32 v18, v51, v9
	v_fma_f16 v9, v48, v9, -v20
	s_delay_alu instid0(VALU_DEP_4)
	v_fmac_f16_e32 v19, v50, v6
	s_wait_loadcnt 0x3
	v_lshrrev_b32_e32 v6, 16, v12
	v_mul_f16_e32 v20, v49, v12
	v_fmac_f16_e32 v18, v48, v7
	v_pack_b32_f16 v17, v19, v17
	s_delay_alu instid0(VALU_DEP_4) | instskip(NEXT) | instid1(VALU_DEP_4)
	v_mul_f16_e32 v19, v49, v6
	v_fma_f16 v6, v47, v6, -v20
	s_delay_alu instid0(VALU_DEP_2) | instskip(SKIP_3) | instid1(VALU_DEP_3)
	v_fmac_f16_e32 v19, v47, v12
	s_wait_loadcnt 0x2
	v_lshrrev_b32_e32 v7, 16, v4
	v_mul_f16_e32 v20, v46, v4
	v_pack_b32_f16 v6, v19, v6
	s_wait_loadcnt 0x1
	v_lshrrev_b32_e32 v12, 16, v5
	s_wait_loadcnt 0x0
	v_lshrrev_b32_e32 v23, 16, v2
	v_mul_f16_e32 v22, v46, v7
	v_fma_f16 v7, v45, v7, -v20
	v_mul_f16_e32 v20, v44, v5
	v_mul_f16_e32 v24, v44, v12
	;; [unrolled: 1-line block ×4, first 2 shown]
	v_fmac_f16_e32 v22, v45, v4
	v_fma_f16 v4, v43, v12, -v20
	v_fmac_f16_e32 v24, v43, v5
	v_fma_f16 v5, v41, v23, -v25
	v_fmac_f16_e32 v26, v41, v2
	v_pack_b32_f16 v7, v22, v7
	v_pack_b32_f16 v2, v18, v9
	;; [unrolled: 1-line block ×3, first 2 shown]
	v_add_co_u32 v22, s0, 0xf2, v52
	v_pack_b32_f16 v5, v26, v5
	ds_store_b32 v40, v11 offset:1452
	ds_store_b32 v40, v8 offset:2904
	ds_store_2addr_b32 v40, v3, v17 offset1:121
	ds_store_b32 v40, v7 offset:968
	ds_store_2addr_b32 v14, v2, v4 offset0:100 offset1:221
	ds_store_2addr_b32 v0, v6, v5 offset0:79 offset1:200
	global_wb scope:SCOPE_SE
	s_wait_dscnt 0x0
	s_wait_kmcnt 0x0
	s_barrier_signal -1
	s_barrier_wait -1
	global_inv scope:SCOPE_SE
	ds_load_2addr_b32 v[2:3], v40 offset1:121
	ds_load_2addr_b32 v[4:5], v1 offset0:114 offset1:235
	ds_load_2addr_b32 v[6:7], v15 offset0:86 offset1:207
	;; [unrolled: 1-line block ×3, first 2 shown]
	ds_load_b32 v12, v40 offset:3872
	s_wait_alu 0xf1ff
	v_add_co_ci_u32_e64 v11, null, 0, 0, s0
	v_and_b32_e32 v11, 0xffff, v13
	v_mul_u32_u24_e32 v13, 3, v21
	v_mul_u32_u24_e32 v14, 3, v22
	global_wb scope:SCOPE_SE
	s_wait_dscnt 0x0
	s_barrier_signal -1
	v_lshlrev_b32_e32 v64, 2, v11
	v_lshlrev_b32_e32 v63, 2, v13
	;; [unrolled: 1-line block ×3, first 2 shown]
	s_barrier_wait -1
	global_inv scope:SCOPE_SE
	v_pk_add_f16 v10, v2, v5
	v_pk_add_f16 v11, v5, v6
	v_pk_add_f16 v5, v5, v6 neg_lo:[0,1] neg_hi:[0,1]
	v_pk_add_f16 v13, v3, v8
	v_pk_add_f16 v14, v8, v7
	v_pk_add_f16 v15, v8, v7 neg_lo:[0,1] neg_hi:[0,1]
	;; [unrolled: 3-line block ×3, first 2 shown]
	v_pk_add_f16 v8, v10, v6
	v_pk_fma_f16 v2, v11, 0.5, v2 op_sel_hi:[1,0,1] neg_lo:[1,0,0] neg_hi:[1,0,0]
	v_pk_mul_f16 v5, 0x3aee, v5 op_sel_hi:[0,1]
	v_pk_add_f16 v11, v13, v7
	v_pk_fma_f16 v3, v14, 0.5, v3 op_sel_hi:[1,0,1] neg_lo:[1,0,0] neg_hi:[1,0,0]
	v_pk_mul_f16 v6, 0x3aee, v15 op_sel_hi:[0,1]
	v_pk_fma_f16 v4, v18, 0.5, v4 op_sel_hi:[1,0,1] neg_lo:[1,0,0] neg_hi:[1,0,0]
	v_pk_mul_f16 v7, 0x3aee, v9 op_sel_hi:[0,1]
	v_pk_add_f16 v14, v17, v12
	v_pk_add_f16 v9, v2, v5 op_sel:[0,1] op_sel_hi:[1,0]
	v_pk_add_f16 v19, v3, v6 op_sel:[0,1] op_sel_hi:[1,0]
	v_pk_add_f16 v38, v2, v5 op_sel:[0,1] op_sel_hi:[1,0] neg_lo:[0,1] neg_hi:[0,1]
	v_pk_add_f16 v15, v4, v7 op_sel:[0,1] op_sel_hi:[1,0]
	v_pk_add_f16 v12, v4, v7 op_sel:[0,1] op_sel_hi:[1,0] neg_lo:[0,1] neg_hi:[0,1]
	v_pk_add_f16 v29, v3, v6 op_sel:[0,1] op_sel_hi:[1,0] neg_lo:[0,1] neg_hi:[0,1]
	v_lshrrev_b32_e32 v25, 16, v9
	v_lshrrev_b32_e32 v24, 16, v19
	;; [unrolled: 1-line block ×4, first 2 shown]
	v_bfi_b32 v2, 0xffff, v38, v9
	v_bfi_b32 v3, 0xffff, v9, v38
	;; [unrolled: 1-line block ×6, first 2 shown]
	ds_store_b32 v64, v8
	ds_store_2addr_b32 v64, v3, v2 offset0:1 offset1:2
	ds_store_b32 v63, v11
	ds_store_2addr_b32 v63, v5, v4 offset0:1 offset1:2
	;; [unrolled: 2-line block ×3, first 2 shown]
	global_wb scope:SCOPE_SE
	s_wait_dscnt 0x0
	s_barrier_signal -1
	s_barrier_wait -1
	global_inv scope:SCOPE_SE
	s_and_saveexec_b32 s0, vcc_lo
	s_cbranch_execz .LBB0_3
; %bb.2:
	ds_load_2addr_b32 v[10:11], v1 offset0:70 offset1:169
	v_add_nc_u32_e32 v1, 0x400, v40
	v_add_nc_u32_e32 v2, 0x800, v40
	ds_load_2addr_b32 v[12:13], v0 offset0:24 offset1:123
	ds_load_b32 v61, v40 offset:3960
	ds_load_2addr_b32 v[19:20], v1 offset0:140 offset1:239
	ds_load_2addr_b32 v[14:15], v2 offset0:82 offset1:181
	ds_load_2addr_b32 v[8:9], v40 offset1:99
	s_wait_dscnt 0x4
	v_lshrrev_b32_e32 v23, 16, v12
	v_lshrrev_b32_e32 v25, 16, v10
	;; [unrolled: 1-line block ×3, first 2 shown]
	s_wait_dscnt 0x3
	v_lshrrev_b32_e32 v83, 16, v61
	s_wait_dscnt 0x2
	v_lshrrev_b32_e32 v24, 16, v20
	;; [unrolled: 2-line block ×3, first 2 shown]
	v_bfi_b32 v29, 0xffff, v20, v19
	s_wait_dscnt 0x0
	v_bfi_b32 v38, 0xffff, v10, v9
.LBB0_3:
	s_wait_alu 0xfffe
	s_or_b32 exec_lo, exec_lo, s0
	v_and_b32_e32 v10, 0xff, v52
	s_delay_alu instid0(VALU_DEP_2)
	v_lshrrev_b32_e32 v39, 16, v38
	v_lshrrev_b32_e32 v75, 16, v11
	;; [unrolled: 1-line block ×4, first 2 shown]
	v_mul_lo_u16 v0, 0xab, v10
	v_lshrrev_b32_e32 v20, 16, v8
	s_delay_alu instid0(VALU_DEP_2) | instskip(NEXT) | instid1(VALU_DEP_1)
	v_lshrrev_b16 v115, 9, v0
	v_mul_lo_u16 v0, v115, 3
	s_delay_alu instid0(VALU_DEP_1) | instskip(NEXT) | instid1(VALU_DEP_1)
	v_sub_nc_u16 v0, v52, v0
	v_and_b32_e32 v60, 0xff, v0
	s_delay_alu instid0(VALU_DEP_1) | instskip(NEXT) | instid1(VALU_DEP_1)
	v_mul_u32_u24_e32 v0, 10, v60
	v_lshlrev_b32_e32 v17, 2, v0
	s_clause 0x2
	global_load_b128 v[4:7], v17, s[10:11]
	global_load_b128 v[0:3], v17, s[10:11] offset:16
	global_load_b64 v[17:18], v17, s[10:11] offset:32
	global_wb scope:SCOPE_SE
	s_wait_loadcnt 0x0
	s_barrier_signal -1
	s_barrier_wait -1
	global_inv scope:SCOPE_SE
	v_lshrrev_b32_e32 v74, 16, v4
	v_lshrrev_b32_e32 v67, 16, v2
	;; [unrolled: 1-line block ×5, first 2 shown]
	v_mul_f16_e32 v77, v39, v74
	v_mul_f16_e32 v37, v9, v74
	;; [unrolled: 1-line block ×5, first 2 shown]
	v_lshrrev_b32_e32 v72, 16, v6
	v_lshrrev_b32_e32 v70, 16, v0
	v_lshrrev_b32_e32 v66, 16, v3
	v_mul_f16_e32 v78, v25, v73
	v_mul_f16_e32 v36, v38, v73
	;; [unrolled: 1-line block ×5, first 2 shown]
	v_fma_f16 v81, v9, v4, -v77
	v_fmac_f16_e32 v37, v39, v4
	v_fmac_f16_e32 v30, v31, v2
	v_fma_f16 v31, v61, v18, -v91
	v_fmac_f16_e32 v26, v83, v18
	v_lshrrev_b32_e32 v71, 16, v7
	v_mul_f16_e32 v79, v75, v72
	v_mul_f16_e32 v35, v11, v72
	;; [unrolled: 1-line block ×5, first 2 shown]
	v_fma_f16 v80, v38, v5, -v78
	v_fmac_f16_e32 v36, v25, v5
	v_fma_f16 v38, v13, v17, -v90
	v_fmac_f16_e32 v27, v82, v17
	v_sub_f16_e32 v105, v81, v31
	v_sub_f16_e32 v92, v37, v26
	v_lshrrev_b32_e32 v69, 16, v1
	v_mul_f16_e32 v85, v76, v71
	v_mul_f16_e32 v34, v19, v71
	v_fma_f16 v79, v11, v6, -v79
	v_fmac_f16_e32 v35, v75, v6
	v_fma_f16 v77, v29, v0, -v86
	v_fma_f16 v39, v12, v3, -v89
	v_fmac_f16_e32 v28, v23, v3
	v_add_f16_e32 v9, v81, v31
	v_add_f16_e32 v13, v37, v26
	v_sub_f16_e32 v107, v80, v38
	v_sub_f16_e32 v97, v36, v27
	v_mul_f16_e32 v86, 0xb853, v92
	v_mul_f16_e32 v91, 0xb853, v105
	;; [unrolled: 1-line block ×7, first 2 shown]
	v_fma_f16 v78, v19, v7, -v85
	v_fmac_f16_e32 v34, v76, v7
	v_fma_f16 v75, v15, v2, -v88
	v_add_f16_e32 v11, v80, v38
	v_add_f16_e32 v12, v36, v27
	v_sub_f16_e32 v110, v79, v39
	v_sub_f16_e32 v99, v35, v28
	v_mul_f16_e32 v85, 0xbb47, v97
	v_mul_f16_e32 v90, 0xbb47, v107
	;; [unrolled: 1-line block ×4, first 2 shown]
	v_fmamk_f16 v29, v9, 0x3abb, v86
	v_fma_f16 v61, v13, 0x3abb, -v91
	v_fmamk_f16 v94, v9, 0x36a6, v104
	v_fma_f16 v95, v13, 0x36a6, -v112
	v_fmac_f16_e32 v33, v24, v0
	v_fma_f16 v76, v14, v1, -v87
	v_fmac_f16_e32 v32, v84, v1
	v_add_f16_e32 v14, v79, v39
	v_add_f16_e32 v15, v35, v28
	v_sub_f16_e32 v111, v78, v75
	v_sub_f16_e32 v93, v34, v30
	v_mul_f16_e32 v84, 0xbbeb, v99
	v_mul_f16_e32 v89, 0xbbeb, v110
	;; [unrolled: 1-line block ×4, first 2 shown]
	v_fmamk_f16 v96, v11, 0x36a6, v85
	v_fma_f16 v116, v12, 0x36a6, -v90
	v_fmamk_f16 v117, v11, 0xb93d, v103
	v_fma_f16 v118, v12, 0xb93d, -v109
	v_add_f16_e32 v29, v8, v29
	v_add_f16_e32 v61, v20, v61
	;; [unrolled: 1-line block ×6, first 2 shown]
	v_sub_f16_e32 v113, v77, v76
	v_sub_f16_e32 v98, v33, v32
	v_mul_f16_e32 v83, 0xba0c, v93
	v_mul_f16_e32 v88, 0xba0c, v111
	;; [unrolled: 1-line block ×4, first 2 shown]
	v_fmamk_f16 v119, v14, 0xb08e, v84
	v_fma_f16 v120, v15, 0xb08e, -v89
	v_fmamk_f16 v121, v14, 0xbbad, v102
	v_fma_f16 v122, v15, 0xbbad, -v108
	v_add_f16_e32 v29, v96, v29
	v_add_f16_e32 v61, v116, v61
	;; [unrolled: 1-line block ×6, first 2 shown]
	v_mul_f16_e32 v82, 0xb482, v98
	v_mul_f16_e32 v87, 0xb482, v113
	;; [unrolled: 1-line block ×4, first 2 shown]
	v_fmamk_f16 v123, v19, 0xb93d, v83
	v_fma_f16 v124, v23, 0xb93d, -v88
	v_fmamk_f16 v125, v19, 0xb08e, v101
	v_fma_f16 v126, v23, 0xb08e, -v106
	v_add_f16_e32 v29, v119, v29
	v_add_f16_e32 v61, v120, v61
	;; [unrolled: 1-line block ×4, first 2 shown]
	v_fmamk_f16 v127, v24, 0xbbad, v82
	v_fma_f16 v128, v25, 0xbbad, -v87
	v_fmamk_f16 v96, v24, 0x3abb, v100
	v_fma_f16 v116, v25, 0x3abb, -v114
	v_add_f16_e32 v29, v123, v29
	v_add_f16_e32 v61, v124, v61
	;; [unrolled: 1-line block ×4, first 2 shown]
	s_delay_alu instid0(VALU_DEP_4) | instskip(NEXT) | instid1(VALU_DEP_4)
	v_add_f16_e32 v29, v127, v29
	v_add_f16_e64 v94, v128, v61
	s_delay_alu instid0(VALU_DEP_4) | instskip(NEXT) | instid1(VALU_DEP_4)
	v_add_f16_e32 v96, v96, v117
	v_add_f16_e32 v95, v116, v95
	v_and_b32_e32 v61, 0xffff, v115
	s_and_saveexec_b32 s0, vcc_lo
	s_cbranch_execz .LBB0_5
; %bb.4:
	v_mul_f16_e32 v124, 0xb482, v105
	v_mul_f16_e64 v138, 0xb482, v92
	v_add_f16_e32 v37, v20, v37
	v_mul_f16_e64 v130, 0x3853, v107
	v_mul_f16_e64 v142, 0x3853, v97
	v_fma_f16 v129, 0xbbad, v13, v124
	v_fma_f16 v141, v9, 0xbbad, -v138
	v_add_f16_e32 v36, v37, v36
	v_fma_f16 v134, 0x3abb, v12, v130
	v_mul_f16_e64 v135, 0xba0c, v110
	v_add_f16_e64 v129, v20, v129
	v_add_f16_e64 v141, v8, v141
	v_fma_f16 v144, v11, 0x3abb, -v142
	v_mul_f16_e64 v145, 0xba0c, v99
	v_add_f16_e32 v35, v36, v35
	v_add_f16_e64 v129, v134, v129
	v_fma_f16 v134, 0xb93d, v15, v135
	v_mul_f16_e64 v139, 0x3b47, v111
	v_add_f16_e64 v141, v144, v141
	v_fma_f16 v144, v14, 0xb93d, -v145
	v_mul_f16_e64 v147, 0x3b47, v93
	v_add_f16_e32 v81, v8, v81
	v_add_f16_e32 v34, v35, v34
	v_mul_f16_e32 v117, 0x36a6, v9
	v_add_f16_e64 v129, v134, v129
	v_fma_f16 v134, 0x36a6, v23, v139
	v_mul_f16_e64 v143, 0xbbeb, v113
	v_add_f16_e64 v141, v144, v141
	v_fma_f16 v144, v19, 0x36a6, -v147
	v_mul_f16_e64 v149, 0xbbeb, v98
	v_mul_f16_e32 v115, 0x3abb, v9
	v_add_f16_e32 v80, v81, v80
	v_add_f16_e32 v33, v34, v33
	v_mul_f16_e32 v121, 0xb93d, v11
	v_add_f16_e64 v129, v134, v129
	v_fma_f16 v134, 0xb08e, v25, v143
	v_mul_f16_e64 v146, 0xba0c, v105
	v_add_f16_e64 v141, v144, v141
	v_fma_f16 v144, v24, 0xb08e, -v149
	v_mul_f16_e64 v152, 0xba0c, v92
	v_sub_f16_e32 v104, v117, v104
	v_mul_f16_e32 v119, 0x36a6, v11
	v_add_f16_e32 v79, v80, v79
	v_sub_f16_e32 v80, v115, v86
	v_add_f16_e32 v32, v33, v32
	v_mul_f16_e32 v126, 0xbbad, v14
	v_add_f16_e64 v129, v134, v129
	v_fma_f16 v134, 0xb93d, v13, v146
	v_mul_f16_e64 v148, 0x3beb, v107
	v_add_f16_e64 v141, v144, v141
	v_fma_f16 v144, v9, 0xb93d, -v152
	v_mul_f16_e64 v154, 0x3beb, v97
	v_add_f16_e32 v104, v8, v104
	v_sub_f16_e32 v103, v121, v103
	v_mul_f16_e32 v123, 0xb08e, v14
	v_add_f16_e32 v78, v79, v78
	v_add_f16_e32 v79, v8, v80
	v_sub_f16_e32 v80, v119, v85
	v_add_f16_e32 v30, v32, v30
	v_mul_f16_e32 v116, 0x3abb, v13
	v_mul_f16_e64 v132, 0xb08e, v19
	v_add_f16_e64 v134, v20, v134
	v_fma_f16 v150, 0xb08e, v12, v148
	v_mul_f16_e64 v151, 0xb853, v110
	v_add_f16_e64 v144, v8, v144
	v_fma_f16 v156, v11, 0xb08e, -v154
	v_mul_f16_e64 v157, 0xb853, v99
	v_add_f16_e32 v103, v103, v104
	v_sub_f16_e32 v102, v126, v102
	v_mul_f16_e64 v128, 0xb93d, v19
	v_add_f16_e32 v77, v78, v77
	v_add_f16_e32 v78, v80, v79
	v_sub_f16_e32 v34, v123, v84
	v_add_f16_e32 v28, v30, v28
	v_mul_f16_e32 v120, 0x36a6, v12
	v_mul_f16_e64 v140, 0x3abb, v24
	v_add_f16_e64 v134, v150, v134
	v_fma_f16 v150, 0x3abb, v15, v151
	v_mul_f16_e64 v153, 0xb482, v111
	v_add_f16_e64 v144, v156, v144
	v_fma_f16 v156, v14, 0x3abb, -v157
	v_mul_f16_e64 v158, 0xb482, v93
	v_add_f16_e32 v102, v102, v103
	v_sub_f16_e64 v101, v132, v101
	v_add_f16_e32 v91, v91, v116
	v_mul_f16_e64 v136, 0xbbad, v24
	v_add_f16_e32 v33, v34, v78
	v_sub_f16_e64 v34, v128, v83
	v_add_f16_e32 v27, v28, v27
	v_mul_f16_e32 v125, 0xb08e, v15
	v_add_f16_e64 v134, v150, v134
	v_fma_f16 v150, 0xbbad, v23, v153
	v_mul_f16_e64 v155, 0x3b47, v113
	v_add_f16_e64 v144, v156, v144
	v_fma_f16 v156, v19, 0xbbad, -v158
	v_mul_f16_e64 v159, 0x3b47, v98
	v_add_f16_e32 v101, v101, v102
	v_sub_f16_e64 v81, v140, v100
	v_add_f16_e32 v91, v20, v91
	v_add_f16_e32 v90, v90, v120
	v_fma_f16 v32, v13, 0xbbad, -v124
	v_add_f16_e32 v33, v34, v33
	v_sub_f16_e64 v34, v136, v82
	v_add_f16_e32 v26, v27, v26
	v_fma_f16 v27, v13, 0xb93d, -v146
	v_mul_f16_e32 v118, 0x36a6, v13
	v_mul_f16_e64 v131, 0xb93d, v23
	v_add_f16_e64 v134, v150, v134
	v_fma_f16 v150, 0x36a6, v25, v155
	v_mul_f16_e32 v105, 0xbbeb, v105
	v_add_f16_e64 v144, v156, v144
	v_fma_f16 v156, v24, 0x36a6, -v159
	v_mul_f16_e32 v92, 0xbbeb, v92
	v_add_f16_e32 v37, v81, v101
	v_add_f16_e32 v81, v90, v91
	;; [unrolled: 1-line block ×4, first 2 shown]
	v_fma_f16 v32, v12, 0x3abb, -v130
	v_add_f16_e32 v33, v34, v33
	v_fmac_f16_e64 v138, 0xbbad, v9
	v_add_f16_e32 v27, v20, v27
	v_fma_f16 v34, v12, 0xb08e, -v148
	v_mul_f16_e32 v122, 0xb93d, v12
	v_mul_f16_e64 v137, 0xbbad, v25
	v_add_f16_e64 v134, v150, v134
	v_fma_f16 v150, 0xb08e, v13, v105
	v_mul_f16_e32 v107, 0x3482, v107
	v_add_f16_e64 v144, v156, v144
	v_fma_f16 v156, v9, 0xb08e, -v92
	v_mul_f16_e32 v97, 0x3482, v97
	v_add_f16_e32 v112, v112, v118
	v_add_f16_e32 v35, v36, v81
	v_add_f16_e64 v36, v88, v131
	v_add_f16_e32 v76, v77, v76
	v_add_f16_e32 v28, v32, v30
	v_fma_f16 v30, v15, 0xb93d, -v135
	v_add_f16_e64 v32, v8, v138
	v_fmac_f16_e64 v142, 0x3abb, v11
	v_add_f16_e32 v27, v34, v27
	v_fma_f16 v34, v15, 0x3abb, -v151
	v_fmac_f16_e64 v152, 0xb93d, v9
	v_fma_f16 v13, v13, 0xb08e, -v105
	v_fmac_f16_e32 v92, 0xb08e, v9
	v_mul_f16_e32 v127, 0xbbad, v15
	v_add_f16_e64 v150, v20, v150
	v_fma_f16 v160, 0xbbad, v12, v107
	v_mul_f16_e32 v110, 0x3b47, v110
	v_add_f16_e64 v156, v8, v156
	v_fma_f16 v161, v11, 0xbbad, -v97
	v_mul_f16_e32 v99, 0x3b47, v99
	v_add_f16_e32 v112, v20, v112
	v_add_f16_e32 v109, v109, v122
	;; [unrolled: 1-line block ×3, first 2 shown]
	v_add_f16_e64 v36, v87, v137
	v_add_f16_e32 v75, v76, v75
	v_add_f16_e32 v28, v30, v28
	v_fma_f16 v30, v23, 0x36a6, -v139
	v_add_f16_e64 v32, v142, v32
	v_fmac_f16_e64 v145, 0xb93d, v14
	v_add_f16_e32 v27, v34, v27
	v_add_f16_e64 v34, v8, v152
	v_fmac_f16_e64 v154, 0xb08e, v11
	v_add_f16_e32 v13, v20, v13
	v_fma_f16 v12, v12, 0xbbad, -v107
	v_add_f16_e32 v8, v8, v92
	v_fmac_f16_e32 v97, 0xbbad, v11
	v_mul_f16_e64 v133, 0xb08e, v23
	v_add_f16_e64 v150, v160, v150
	v_fma_f16 v160, 0x36a6, v15, v110
	v_mul_f16_e32 v111, 0xb853, v111
	v_add_f16_e64 v156, v161, v156
	v_fma_f16 v161, v14, 0x36a6, -v99
	v_mul_f16_e32 v93, 0xb853, v93
	v_add_f16_e32 v109, v109, v112
	v_add_f16_e32 v108, v108, v127
	;; [unrolled: 1-line block ×5, first 2 shown]
	v_fma_f16 v30, v25, 0xb08e, -v143
	v_add_f16_e64 v32, v145, v32
	v_fmac_f16_e64 v147, 0x36a6, v19
	v_add_f16_e64 v9, v154, v34
	v_fmac_f16_e64 v157, 0x3abb, v14
	v_add_f16_e32 v11, v12, v13
	v_fma_f16 v12, v15, 0x36a6, -v110
	v_add_f16_e32 v8, v97, v8
	v_fmac_f16_e32 v99, 0x36a6, v14
	v_add_f16_e64 v150, v160, v150
	v_fma_f16 v160, 0x3abb, v23, v111
	v_mul_f16_e32 v113, 0xba0c, v113
	v_mul_f16_e32 v118, 0x3abb, v25
	v_add_f16_e64 v117, v161, v156
	v_fma_f16 v112, v19, 0x3abb, -v93
	v_mul_f16_e32 v98, 0xba0c, v98
	v_add_f16_e32 v108, v108, v109
	v_add_f16_e64 v106, v106, v133
	v_add_f16_e32 v36, v36, v38
	v_add_f16_e32 v28, v30, v28
	v_add_f16_e64 v30, v147, v32
	v_fma_f16 v32, v23, 0xbbad, -v153
	v_add_f16_e64 v9, v157, v9
	v_fmac_f16_e64 v158, 0xbbad, v19
	v_add_f16_e32 v11, v12, v11
	v_fma_f16 v12, v23, 0x3abb, -v111
	v_add_f16_e32 v8, v99, v8
	v_fmac_f16_e32 v93, 0x3abb, v19
	v_add_f16_e64 v150, v160, v150
	v_fma_f16 v160, 0xb93d, v25, v113
	v_add_f16_e32 v104, v112, v117
	v_fma_f16 v109, v24, 0xb93d, -v98
	v_add_f16_e32 v106, v106, v108
	v_add_f16_e32 v108, v114, v118
	v_add_f16_e32 v31, v36, v31
	v_mul_u32_u24_e32 v14, 33, v61
	v_fmac_f16_e64 v149, 0xb08e, v24
	v_add_f16_e32 v27, v32, v27
	v_fma_f16 v13, v25, 0x36a6, -v155
	v_add_f16_e64 v9, v158, v9
	v_fmac_f16_e64 v159, 0x36a6, v24
	v_add_f16_e32 v11, v12, v11
	v_fma_f16 v12, v25, 0xb93d, -v113
	v_add_f16_e32 v8, v93, v8
	v_fmac_f16_e32 v98, 0xb93d, v24
	v_add_f16_e64 v122, v160, v150
	v_add_f16_e32 v103, v109, v104
	v_add_f16_e32 v104, v108, v106
	v_add_lshl_u32 v14, v14, v60, 2
	v_pack_b32_f16 v15, v31, v26
	v_pack_b32_f16 v19, v33, v35
	v_add_f16_e64 v30, v149, v30
	v_add_f16_e32 v13, v13, v27
	v_add_f16_e64 v9, v159, v9
	v_add_f16_e32 v11, v12, v11
	v_add_f16_e32 v8, v98, v8
	ds_store_2addr_b32 v14, v15, v19 offset1:3
	v_pack_b32_f16 v12, v37, v104
	v_pack_b32_f16 v15, v103, v122
	;; [unrolled: 1-line block ×7, first 2 shown]
	v_perm_b32 v11, v95, v96, 0x5040100
	v_perm_b32 v13, v94, v29, 0x5040100
	ds_store_2addr_b32 v14, v12, v15 offset0:6 offset1:9
	ds_store_2addr_b32 v14, v19, v20 offset0:12 offset1:15
	;; [unrolled: 1-line block ×4, first 2 shown]
	ds_store_b32 v14, v13 offset:120
.LBB0_5:
	s_wait_alu 0xfffe
	s_or_b32 exec_lo, exec_lo, s0
	v_mul_lo_u16 v8, 0xf9, v10
	v_and_b32_e32 v9, 0xff, v21
	global_wb scope:SCOPE_SE
	s_wait_dscnt 0x0
	s_barrier_signal -1
	s_barrier_wait -1
	v_lshrrev_b16 v13, 13, v8
	v_and_b32_e32 v8, 0xffff, v22
	v_mul_lo_u16 v9, 0xf9, v9
	global_inv scope:SCOPE_SE
	v_add_nc_u32_e32 v11, 0x600, v40
	v_mul_lo_u16 v10, v13, 33
	v_mul_u32_u24_e32 v8, 0xf83f, v8
	v_lshrrev_b16 v14, 13, v9
	ds_load_2addr_b32 v[32:33], v40 offset1:121
	v_and_b32_e32 v13, 0xffff, v13
	v_sub_nc_u16 v9, v52, v10
	v_lshrrev_b32_e32 v15, 21, v8
	v_mul_lo_u16 v8, v14, 33
	v_and_b32_e32 v14, 0xffff, v14
	v_mul_u32_u24_e32 v13, 0x63, v13
	v_and_b32_e32 v25, 0xff, v9
	v_mul_lo_u16 v9, v15, 33
	v_sub_nc_u16 v8, v21, v8
	v_mul_u32_u24_e32 v14, 0x63, v14
	s_delay_alu instid0(VALU_DEP_4) | instskip(NEXT) | instid1(VALU_DEP_4)
	v_lshlrev_b32_e32 v10, 3, v25
	v_sub_nc_u16 v26, v22, v9
	s_delay_alu instid0(VALU_DEP_4)
	v_and_b32_e32 v30, 0xff, v8
	v_add_lshl_u32 v77, v13, v25, 2
	global_load_b64 v[23:24], v10, s[10:11] offset:120
	v_lshlrev_b16 v8, 3, v26
	v_lshlrev_b32_e32 v9, 3, v30
	v_mad_u16 v15, 0x63, v15, v26
	v_add_lshl_u32 v76, v14, v30, 2
	s_wait_dscnt 0x0
	v_lshrrev_b32_e32 v101, 16, v32
	v_and_b32_e32 v8, 0xffff, v8
	global_load_b64 v[21:22], v9, s[10:11] offset:120
	v_and_b32_e32 v15, 0xffff, v15
	v_lshrrev_b32_e32 v98, 16, v33
	v_add_co_u32 v8, s0, s10, v8
	s_wait_alu 0xf1ff
	v_add_co_ci_u32_e64 v9, null, s11, 0, s0
	v_lshlrev_b32_e32 v75, 2, v15
	v_add_co_u32 v27, s0, s8, v40
	global_load_b64 v[19:20], v[8:9], off offset:120
	v_add_nc_u32_e32 v8, 0x200, v40
	v_add_nc_u32_e32 v9, 0xa00, v40
	ds_load_b32 v31, v40 offset:3872
	ds_load_2addr_b32 v[34:35], v8 offset0:114 offset1:235
	ds_load_2addr_b32 v[9:10], v9 offset0:86 offset1:207
	;; [unrolled: 1-line block ×3, first 2 shown]
	s_wait_alu 0xf1ff
	v_add_co_ci_u32_e64 v28, null, s9, 0, s0
	global_wb scope:SCOPE_SE
	s_wait_loadcnt_dscnt 0x0
	s_barrier_signal -1
	s_barrier_wait -1
	global_inv scope:SCOPE_SE
	v_lshrrev_b32_e32 v36, 16, v31
	v_lshrrev_b32_e32 v26, 16, v35
	;; [unrolled: 1-line block ×9, first 2 shown]
	s_delay_alu instid0(VALU_DEP_2) | instskip(SKIP_1) | instid1(VALU_DEP_3)
	v_mul_f16_e32 v13, v26, v88
	v_mul_f16_e32 v14, v35, v88
	;; [unrolled: 1-line block ×3, first 2 shown]
	v_lshrrev_b32_e32 v93, 16, v21
	v_lshrrev_b32_e32 v91, 16, v22
	v_mul_f16_e32 v25, v9, v89
	v_fma_f16 v13, v35, v23, -v13
	v_fmac_f16_e32 v14, v26, v23
	v_fma_f16 v9, v9, v24, -v15
	v_mul_f16_e32 v15, v38, v93
	v_mul_f16_e32 v26, v11, v93
	;; [unrolled: 1-line block ×4, first 2 shown]
	v_lshrrev_b32_e32 v92, 16, v19
	v_lshrrev_b32_e32 v87, 16, v20
	v_fmac_f16_e32 v25, v37, v24
	v_fma_f16 v11, v11, v21, -v15
	v_fmac_f16_e32 v26, v38, v21
	v_fma_f16 v10, v10, v22, -v30
	v_fmac_f16_e32 v35, v39, v22
	v_mul_f16_e32 v15, v78, v92
	v_mul_f16_e32 v38, v12, v92
	;; [unrolled: 1-line block ×4, first 2 shown]
	v_add_f16_e32 v37, v32, v13
	v_add_f16_e32 v79, v13, v9
	;; [unrolled: 1-line block ×3, first 2 shown]
	v_sub_f16_e32 v80, v14, v25
	v_add_f16_e32 v14, v14, v25
	v_sub_f16_e32 v13, v13, v9
	v_fma_f16 v12, v12, v19, -v15
	v_fmac_f16_e32 v38, v78, v19
	v_fma_f16 v15, v31, v20, -v30
	v_fmac_f16_e32 v39, v36, v20
	v_add_f16_e32 v30, v37, v9
	v_fma_f16 v36, -0.5, v79, v32
	v_add_f16_e32 v97, v81, v25
	v_add_f16_e32 v9, v33, v11
	v_sub_f16_e32 v25, v26, v35
	v_add_f16_e32 v32, v98, v26
	v_add_f16_e32 v26, v26, v35
	v_fmac_f16_e32 v101, -0.5, v14
	v_add_f16_e32 v14, v11, v10
	v_sub_f16_e32 v11, v11, v10
	v_add_f16_e32 v37, v9, v10
	v_fmac_f16_e32 v98, -0.5, v26
	v_add_f16_e32 v10, v12, v15
	v_add_f16_e32 v26, v38, v39
	v_fmamk_f16 v31, v80, 0x3aee, v36
	v_fmamk_f16 v106, v13, 0xbaee, v101
	v_fmac_f16_e32 v33, -0.5, v14
	v_add_f16_e32 v9, v34, v12
	v_fmac_f16_e32 v101, 0x3aee, v13
	v_sub_f16_e32 v13, v38, v39
	v_add_f16_e32 v14, v111, v38
	v_sub_f16_e32 v12, v12, v15
	v_fmac_f16_e32 v34, -0.5, v10
	v_fmac_f16_e32 v111, -0.5, v26
	v_fmac_f16_e32 v36, 0xbaee, v80
	v_add_f16_e32 v110, v32, v35
	v_pack_b32_f16 v35, v30, v97
	v_fmamk_f16 v32, v25, 0x3aee, v33
	v_fmamk_f16 v112, v11, 0xbaee, v98
	v_add_f16_e32 v38, v9, v15
	v_pack_b32_f16 v9, v31, v106
	v_fmac_f16_e32 v33, 0xbaee, v25
	v_fmac_f16_e32 v98, 0x3aee, v11
	v_add_f16_e32 v119, v14, v39
	v_fmamk_f16 v39, v13, 0x3aee, v34
	v_fmamk_f16 v120, v12, 0xbaee, v111
	v_fmac_f16_e32 v34, 0xbaee, v13
	v_fmac_f16_e32 v111, 0x3aee, v12
	v_pack_b32_f16 v10, v36, v101
	v_pack_b32_f16 v11, v37, v110
	ds_store_2addr_b32 v77, v35, v9 offset1:33
	v_pack_b32_f16 v9, v32, v112
	v_pack_b32_f16 v12, v33, v98
	;; [unrolled: 1-line block ×5, first 2 shown]
	ds_store_b32 v77, v10 offset:264
	ds_store_2addr_b32 v76, v11, v9 offset1:33
	ds_store_b32 v76, v12 offset:264
	ds_store_2addr_b32 v75, v13, v14 offset1:33
	ds_store_b32 v75, v15 offset:264
	global_wb scope:SCOPE_SE
	s_wait_dscnt 0x0
	s_barrier_signal -1
	s_barrier_wait -1
	global_inv scope:SCOPE_SE
	s_and_saveexec_b32 s0, vcc_lo
	s_cbranch_execz .LBB0_7
; %bb.6:
	v_add_nc_u32_e32 v9, 0x400, v40
	ds_load_2addr_b32 v[36:37], v8 offset0:70 offset1:169
	v_add_nc_u32_e32 v8, 0x800, v40
	v_add_nc_u32_e32 v10, 0xc00, v40
	ds_load_2addr_b32 v[30:31], v40 offset1:99
	ds_load_b32 v29, v40 offset:3960
	ds_load_2addr_b32 v[32:33], v9 offset0:140 offset1:239
	ds_load_2addr_b32 v[38:39], v8 offset0:82 offset1:181
	;; [unrolled: 1-line block ×3, first 2 shown]
	s_wait_dscnt 0x5
	v_lshrrev_b32_e32 v101, 16, v36
	v_lshrrev_b32_e32 v110, 16, v37
	s_wait_dscnt 0x3
	v_lshrrev_b32_e32 v94, 16, v29
	v_lshrrev_b32_e32 v97, 16, v30
	s_wait_dscnt 0x0
	v_mov_b32_e32 v96, v35
	v_lshrrev_b32_e32 v106, 16, v31
	v_lshrrev_b32_e32 v112, 16, v32
	;; [unrolled: 1-line block ×7, first 2 shown]
.LBB0_7:
	s_wait_alu 0xfffe
	s_or_b32 exec_lo, exec_lo, s0
	v_add_nc_u32_e32 v8, 0xffffff9d, v52
	s_delay_alu instid0(VALU_DEP_1) | instskip(NEXT) | instid1(VALU_DEP_1)
	v_cndmask_b32_e32 v8, v8, v52, vcc_lo
	v_mul_i32_i24_e32 v9, 40, v8
	v_mul_hi_i32_i24_e32 v8, 40, v8
	s_delay_alu instid0(VALU_DEP_2) | instskip(SKIP_1) | instid1(VALU_DEP_2)
	v_add_co_u32 v25, s0, s10, v9
	s_wait_alu 0xf1ff
	v_add_co_ci_u32_e64 v26, s0, s11, v8, s0
	s_clause 0x2
	global_load_b128 v[12:15], v[25:26], off offset:384
	global_load_b128 v[8:11], v[25:26], off offset:400
	global_load_b64 v[25:26], v[25:26], off offset:416
	s_wait_loadcnt 0x2
	v_lshrrev_b32_e32 v86, 16, v12
	v_lshrrev_b32_e32 v84, 16, v13
	s_wait_loadcnt 0x0
	v_lshrrev_b32_e32 v90, 16, v26
	v_lshrrev_b32_e32 v82, 16, v11
	;; [unrolled: 1-line block ×3, first 2 shown]
	v_mul_f16_e32 v113, v106, v86
	v_mul_f16_e32 v109, v31, v86
	;; [unrolled: 1-line block ×4, first 2 shown]
	v_lshrrev_b32_e32 v83, 16, v14
	v_lshrrev_b32_e32 v78, 16, v8
	v_mul_f16_e32 v114, v101, v84
	v_mul_f16_e32 v108, v36, v84
	;; [unrolled: 1-line block ×5, first 2 shown]
	v_fma_f16 v118, v31, v12, -v113
	v_fmac_f16_e32 v109, v106, v12
	v_fma_f16 v106, v29, v26, -v127
	v_fmac_f16_e32 v35, v94, v26
	v_lshrrev_b32_e32 v80, 16, v15
	v_lshrrev_b32_e32 v79, 16, v9
	;; [unrolled: 1-line block ×3, first 2 shown]
	v_mul_f16_e32 v115, v110, v83
	v_mul_f16_e32 v107, v37, v83
	;; [unrolled: 1-line block ×4, first 2 shown]
	v_fma_f16 v117, v36, v13, -v114
	v_fmac_f16_e32 v108, v101, v13
	v_fmac_f16_e32 v100, v111, v11
	v_fma_f16 v111, v96, v25, -v126
	v_fmac_f16_e32 v99, v95, v25
	v_sub_f16_e64 v137, v118, v106
	v_sub_f16_e64 v129, v109, v35
	v_mul_f16_e32 v121, v112, v80
	v_mul_f16_e32 v105, v32, v80
	;; [unrolled: 1-line block ×6, first 2 shown]
	v_fma_f16 v116, v37, v14, -v115
	v_fmac_f16_e32 v107, v110, v14
	v_fma_f16 v114, v33, v8, -v122
	v_fma_f16 v110, v34, v11, -v125
	v_add_f16_e32 v31, v118, v106
	v_add_f16_e32 v33, v109, v35
	v_sub_f16_e64 v144, v117, v111
	v_sub_f16_e64 v132, v108, v99
	v_mul_f16_e64 v126, 0xb853, v129
	v_mul_f16_e64 v128, 0xb853, v137
	;; [unrolled: 1-line block ×4, first 2 shown]
	v_mul_f16_e32 v103, v38, v79
	v_fma_f16 v115, v32, v15, -v121
	v_fmac_f16_e32 v105, v112, v15
	v_fma_f16 v113, v38, v9, -v123
	v_fma_f16 v112, v39, v10, -v124
	v_fmac_f16_e32 v102, v120, v10
	v_add_f16_e32 v32, v117, v111
	v_add_f16_e32 v34, v108, v99
	v_sub_f16_e64 v146, v116, v110
	v_sub_f16_e64 v135, v107, v100
	v_mul_f16_e64 v124, 0xbb47, v132
	v_mul_f16_e64 v127, 0xbb47, v144
	;; [unrolled: 1-line block ×4, first 2 shown]
	v_fmamk_f16 v29, v31, 0x3abb, v126
	v_fma_f16 v38, v33, 0x3abb, -v128
	v_fma_f16 v39, 0x36a6, v31, v142
	v_fma_f16 v94, v33, 0x36a6, -v145
	v_fmac_f16_e32 v104, v98, v8
	v_fmac_f16_e32 v103, v119, v9
	v_add_f16_e32 v36, v116, v110
	v_add_f16_e32 v37, v107, v100
	v_sub_f16_e64 v147, v115, v112
	v_sub_f16_e64 v133, v105, v102
	v_mul_f16_e64 v122, 0xbbeb, v135
	v_mul_f16_e64 v125, 0xbbeb, v146
	;; [unrolled: 1-line block ×4, first 2 shown]
	v_fma_f16 v149, 0x36a6, v32, v124
	v_fma_f16 v150, v34, 0x36a6, -v127
	v_fma_f16 v151, 0xb93d, v32, v140
	v_fma_f16 v152, v34, 0xb93d, -v143
	v_add_f16_e32 v29, v30, v29
	v_add_f16_e32 v38, v97, v38
	;; [unrolled: 1-line block ×6, first 2 shown]
	v_sub_f16_e64 v148, v114, v113
	v_sub_f16_e64 v134, v104, v103
	v_mul_f16_e64 v120, 0xba0c, v133
	v_mul_f16_e64 v123, 0xba0c, v147
	;; [unrolled: 1-line block ×4, first 2 shown]
	v_fma_f16 v153, 0xb08e, v36, v122
	v_fma_f16 v154, v37, 0xb08e, -v125
	v_fma_f16 v155, 0xbbad, v36, v138
	v_fma_f16 v156, v37, 0xbbad, -v141
	v_add_f16_e64 v29, v149, v29
	v_add_f16_e64 v38, v150, v38
	v_add_f16_e64 v39, v151, v39
	v_add_f16_e64 v94, v152, v94
	v_add_f16_e32 v98, v114, v113
	v_add_f16_e32 v101, v104, v103
	v_mul_f16_e64 v119, 0xb482, v134
	v_mul_f16_e64 v121, 0xb482, v148
	;; [unrolled: 1-line block ×4, first 2 shown]
	v_fma_f16 v157, 0xb93d, v95, v120
	v_fma_f16 v158, v96, 0xb93d, -v123
	v_fma_f16 v159, 0xb08e, v95, v136
	v_fma_f16 v160, v96, 0xb08e, -v139
	v_add_f16_e64 v29, v153, v29
	v_add_f16_e64 v38, v154, v38
	;; [unrolled: 1-line block ×4, first 2 shown]
	v_fma_f16 v161, 0xbbad, v98, v119
	v_fma_f16 v162, v101, 0xbbad, -v121
	v_fma_f16 v149, 0x3abb, v98, v130
	v_fma_f16 v150, v101, 0x3abb, -v131
	v_add_f16_e64 v29, v157, v29
	v_add_f16_e64 v38, v158, v38
	;; [unrolled: 1-line block ×4, first 2 shown]
	s_delay_alu instid0(VALU_DEP_4) | instskip(NEXT) | instid1(VALU_DEP_4)
	v_add_f16_e64 v39, v161, v29
	v_add_f16_e64 v94, v162, v38
	s_delay_alu instid0(VALU_DEP_4) | instskip(NEXT) | instid1(VALU_DEP_4)
	v_add_f16_e64 v29, v149, v151
	v_add_f16_e64 v38, v150, v152
	s_and_saveexec_b32 s0, vcc_lo
	s_cbranch_execz .LBB0_9
; %bb.8:
	v_mul_f16_e64 v155, 0xb482, v137
	v_add_f16_e32 v118, v30, v118
	v_add_f16_e32 v109, v97, v109
	v_mul_f16_e64 v161, 0x3853, v144
	v_mul_f16_e64 v173, 0xb482, v129
	v_fma_f16 v160, 0xbbad, v33, v155
	v_mul_f16_e64 v178, 0xba0c, v137
	v_add_f16_e32 v117, v118, v117
	v_add_f16_e32 v108, v109, v108
	v_fma_f16 v165, 0x3abb, v34, v161
	v_add_f16_e64 v160, v97, v160
	v_mul_f16_e64 v166, 0xba0c, v146
	v_fma_f16 v176, v31, 0xbbad, -v173
	v_mul_f16_e64 v177, 0x3853, v132
	v_fma_f16 v182, 0xb93d, v33, v178
	v_mul_f16_e64 v183, 0x3beb, v144
	v_mul_f16_e64 v150, 0x3abb, v33
	v_add_f16_e32 v116, v117, v116
	v_add_f16_e32 v107, v108, v107
	v_add_f16_e64 v160, v165, v160
	v_fma_f16 v165, 0xb93d, v37, v166
	v_mul_f16_e64 v170, 0x3b47, v147
	v_add_f16_e64 v176, v30, v176
	v_fma_f16 v179, v32, 0x3abb, -v177
	v_mul_f16_e64 v180, 0xba0c, v135
	v_add_f16_e64 v182, v97, v182
	v_fma_f16 v185, 0xb08e, v34, v183
	v_mul_f16_e64 v186, 0xb853, v146
	v_mul_f16_e64 v149, 0x3abb, v31
	;; [unrolled: 1-line block ×3, first 2 shown]
	v_add_f16_e64 v128, v128, v150
	v_add_f16_e32 v115, v116, v115
	v_add_f16_e32 v105, v107, v105
	v_add_f16_e64 v160, v165, v160
	v_fma_f16 v165, 0x36a6, v96, v170
	v_add_f16_e64 v176, v179, v176
	v_fma_f16 v179, v36, 0xb93d, -v180
	v_mul_f16_e64 v184, 0x3b47, v133
	v_add_f16_e64 v182, v185, v182
	v_fma_f16 v185, 0x3abb, v37, v186
	v_mul_f16_e64 v188, 0xb482, v147
	v_mul_f16_e64 v153, 0x36a6, v32
	;; [unrolled: 1-line block ×3, first 2 shown]
	v_sub_f16_e64 v117, v149, v126
	v_add_f16_e64 v126, v97, v128
	v_add_f16_e64 v127, v127, v154
	v_add_f16_e32 v114, v115, v114
	v_add_f16_e32 v104, v105, v104
	v_add_f16_e64 v160, v165, v160
	v_mul_f16_e64 v165, 0xbbeb, v148
	v_add_f16_e64 v176, v179, v176
	v_fma_f16 v179, v95, 0x36a6, -v184
	v_mul_f16_e64 v187, 0xbbeb, v134
	v_add_f16_e64 v182, v185, v182
	v_fma_f16 v185, 0xbbad, v96, v188
	v_mul_f16_e64 v137, 0xbbeb, v137
	v_mul_f16_e64 v158, 0xb08e, v36
	;; [unrolled: 1-line block ×3, first 2 shown]
	v_add_f16_e32 v109, v30, v117
	v_sub_f16_e64 v116, v153, v124
	v_add_f16_e32 v117, v127, v126
	v_add_f16_e64 v108, v125, v159
	v_add_f16_e32 v113, v114, v113
	v_add_f16_e32 v103, v104, v103
	v_fma_f16 v181, 0xb08e, v101, v165
	v_add_f16_e64 v176, v179, v176
	v_fma_f16 v179, v98, 0xb08e, -v187
	v_mul_f16_e64 v189, 0xba0c, v129
	v_add_f16_e64 v182, v185, v182
	v_mul_f16_e64 v185, 0x3b47, v148
	v_fma_f16 v193, 0xb08e, v33, v137
	v_mul_f16_e64 v144, 0x3482, v144
	v_mul_f16_e64 v164, 0xb93d, v95
	;; [unrolled: 1-line block ×3, first 2 shown]
	v_add_f16_e32 v109, v116, v109
	v_sub_f16_e64 v115, v158, v122
	v_add_f16_e32 v107, v108, v117
	v_add_f16_e64 v108, v123, v167
	v_add_f16_e32 v112, v113, v112
	v_add_f16_e32 v102, v103, v102
	v_mul_f16_e64 v151, 0x36a6, v31
	v_mul_f16_e64 v152, 0x36a6, v33
	v_add_f16_e64 v160, v181, v160
	v_add_f16_e64 v176, v179, v176
	v_fma_f16 v179, v31, 0xb93d, -v189
	v_mul_f16_e64 v181, 0x3beb, v132
	v_fma_f16 v192, 0x36a6, v101, v185
	v_add_f16_e64 v193, v97, v193
	v_fma_f16 v195, 0xbbad, v34, v144
	v_mul_f16_e64 v129, 0xbbeb, v129
	v_mul_f16_e64 v171, 0xbbad, v98
	v_add_f16_e32 v109, v115, v109
	v_sub_f16_e64 v105, v164, v120
	v_add_f16_e32 v107, v108, v107
	v_add_f16_e64 v108, v121, v172
	v_add_f16_e32 v110, v112, v110
	v_fma_f16 v103, v33, 0xbbad, -v155
	v_add_f16_e32 v100, v102, v100
	v_mul_f16_e64 v156, 0xb93d, v32
	v_mul_f16_e64 v157, 0xb93d, v34
	v_add_f16_e64 v179, v30, v179
	v_fma_f16 v190, v32, 0xb08e, -v181
	v_mul_f16_e64 v191, 0xb853, v135
	v_add_f16_e64 v182, v192, v182
	v_add_f16_e64 v192, v195, v193
	v_fma_f16 v195, v31, 0xb08e, -v129
	v_mul_f16_e64 v132, 0x3482, v132
	v_add_f16_e64 v145, v145, v152
	v_sub_f16_e64 v142, v151, v142
	v_add_f16_e32 v104, v105, v109
	v_sub_f16_e64 v105, v171, v119
	v_add_f16_e32 v107, v108, v107
	v_add_f16_e32 v108, v110, v111
	v_fmac_f16_e64 v173, 0xbbad, v31
	v_add_f16_e32 v102, v97, v103
	v_fma_f16 v103, v34, 0x3abb, -v161
	v_add_f16_e32 v99, v100, v99
	v_fma_f16 v100, v33, 0xb93d, -v178
	v_fmac_f16_e64 v189, 0xb93d, v31
	v_fma_f16 v33, v33, 0xb08e, -v137
	v_fmac_f16_e64 v129, 0xb08e, v31
	v_mul_f16_e64 v162, 0xbbad, v36
	v_mul_f16_e64 v163, 0xbbad, v37
	v_add_f16_e64 v179, v190, v179
	v_fma_f16 v190, v36, 0x3abb, -v191
	v_mul_f16_e64 v194, 0xb482, v133
	v_mul_f16_e64 v146, 0x3b47, v146
	v_add_f16_e64 v195, v30, v195
	v_fma_f16 v197, v32, 0xbbad, -v132
	v_mul_f16_e64 v135, 0x3b47, v135
	v_add_f16_e64 v145, v97, v145
	v_add_f16_e64 v143, v143, v157
	;; [unrolled: 1-line block ×3, first 2 shown]
	v_sub_f16_e64 v140, v156, v140
	v_add_f16_e32 v104, v105, v104
	v_add_f16_e32 v105, v108, v106
	v_add_f16_e64 v106, v30, v173
	v_fmac_f16_e64 v177, 0x3abb, v32
	v_add_f16_e32 v102, v103, v102
	v_fma_f16 v103, v37, 0xb93d, -v166
	v_add_f16_e32 v100, v97, v100
	v_fma_f16 v108, v34, 0xb08e, -v183
	v_add_f16_e64 v31, v30, v189
	v_fmac_f16_e64 v181, 0xb08e, v32
	v_add_f16_e32 v33, v97, v33
	v_fma_f16 v34, v34, 0xbbad, -v144
	v_add_f16_e64 v30, v30, v129
	v_fmac_f16_e64 v132, 0xbbad, v32
	v_mul_f16_e64 v168, 0xb08e, v95
	v_mul_f16_e64 v169, 0xb08e, v96
	v_add_f16_e64 v179, v190, v179
	v_fma_f16 v190, v95, 0xbbad, -v194
	v_fma_f16 v193, 0x36a6, v37, v146
	v_mul_f16_e64 v147, 0xb853, v147
	v_add_f16_e64 v152, v197, v195
	v_fma_f16 v151, v36, 0x36a6, -v135
	v_mul_f16_e64 v133, 0xb853, v133
	v_add_f16_e64 v143, v143, v145
	v_add_f16_e64 v141, v141, v163
	;; [unrolled: 1-line block ×3, first 2 shown]
	v_sub_f16_e64 v138, v162, v138
	v_add_f16_e64 v106, v177, v106
	v_fmac_f16_e64 v180, 0xb93d, v36
	v_add_f16_e32 v102, v103, v102
	v_fma_f16 v103, v96, 0x36a6, -v170
	v_add_f16_e32 v100, v108, v100
	v_fma_f16 v108, v37, 0x3abb, -v186
	v_add_f16_e64 v31, v181, v31
	v_fmac_f16_e64 v191, 0x3abb, v36
	v_add_f16_e32 v32, v34, v33
	v_fma_f16 v33, v37, 0x36a6, -v146
	v_add_f16_e64 v30, v132, v30
	v_fmac_f16_e64 v135, 0x36a6, v36
	v_mul_f16_e64 v174, 0x3abb, v98
	v_mul_f16_e64 v175, 0x3abb, v101
	v_add_f16_e64 v179, v190, v179
	v_mul_f16_e64 v190, 0x3b47, v134
	v_add_f16_e64 v192, v193, v192
	v_fma_f16 v193, 0x3abb, v96, v147
	v_mul_f16_e64 v148, 0xba0c, v148
	v_add_f16_e64 v151, v151, v152
	v_fma_f16 v152, v95, 0x3abb, -v133
	v_mul_f16_e64 v134, 0xba0c, v134
	v_add_f16_e64 v141, v141, v143
	v_add_f16_e64 v139, v139, v169
	;; [unrolled: 1-line block ×3, first 2 shown]
	v_sub_f16_e64 v136, v168, v136
	v_add_f16_e64 v106, v180, v106
	v_fmac_f16_e64 v184, 0x36a6, v95
	v_add_f16_e32 v102, v103, v102
	v_fma_f16 v103, v101, 0xb08e, -v165
	v_add_f16_e32 v100, v108, v100
	v_fma_f16 v108, v96, 0xbbad, -v188
	v_add_f16_e64 v31, v191, v31
	v_fmac_f16_e64 v194, 0xbbad, v95
	v_add_f16_e32 v32, v33, v32
	v_fma_f16 v33, v96, 0x3abb, -v147
	v_add_f16_e64 v30, v135, v30
	v_fmac_f16_e64 v133, 0x3abb, v95
	v_add_f16_e64 v192, v193, v192
	v_fma_f16 v193, 0xb93d, v101, v148
	v_add_f16_e64 v142, v152, v151
	v_fma_f16 v140, v98, 0xb93d, -v134
	v_add_f16_e64 v139, v139, v141
	v_add_f16_e64 v131, v131, v175
	;; [unrolled: 1-line block ×3, first 2 shown]
	v_sub_f16_e64 v130, v174, v130
	v_add_f16_e32 v35, v99, v35
	v_fma_f16 v196, v98, 0x36a6, -v190
	v_add_f16_e64 v106, v184, v106
	v_fmac_f16_e64 v187, 0xb08e, v98
	v_add_f16_e32 v99, v103, v102
	v_add_f16_e32 v100, v108, v100
	v_fma_f16 v103, v101, 0x36a6, -v185
	v_add_f16_e64 v31, v194, v31
	v_fmac_f16_e64 v190, 0x36a6, v98
	v_add_f16_e32 v32, v33, v32
	v_fma_f16 v33, v101, 0xb93d, -v148
	v_add_f16_e64 v30, v133, v30
	v_fmac_f16_e64 v134, 0xb93d, v98
	v_add_f16_e64 v192, v193, v192
	v_add_f16_e64 v118, v140, v142
	;; [unrolled: 1-line block ×4, first 2 shown]
	v_pack_b32_f16 v34, v105, v35
	v_pack_b32_f16 v35, v104, v107
	v_add_f16_e64 v179, v196, v179
	v_add_f16_e64 v102, v187, v106
	v_add_f16_e32 v36, v103, v100
	v_add_f16_e64 v31, v190, v31
	v_add_f16_e32 v32, v33, v32
	v_add_f16_e64 v30, v134, v30
	ds_store_2addr_b32 v40, v34, v35 offset1:99
	v_pack_b32_f16 v33, v130, v131
	v_pack_b32_f16 v34, v118, v192
	v_add_nc_u32_e32 v35, 0x200, v40
	v_pack_b32_f16 v37, v179, v182
	v_pack_b32_f16 v95, v176, v160
	v_add_nc_u32_e32 v96, 0x400, v40
	;; [unrolled: 3-line block ×3, first 2 shown]
	v_pack_b32_f16 v30, v30, v32
	v_perm_b32 v32, v38, v29, 0x5040100
	v_add_nc_u32_e32 v98, 0xc00, v40
	v_perm_b32 v99, v94, v39, 0x5040100
	ds_store_2addr_b32 v35, v33, v34 offset0:70 offset1:169
	ds_store_2addr_b32 v96, v37, v95 offset0:140 offset1:239
	ds_store_2addr_b32 v36, v97, v31 offset0:82 offset1:181
	ds_store_2addr_b32 v98, v30, v32 offset0:24 offset1:123
	ds_store_b32 v40, v99 offset:3960
.LBB0_9:
	s_wait_alu 0xfffe
	s_or_b32 exec_lo, exec_lo, s0
	global_wb scope:SCOPE_SE
	s_wait_dscnt 0x0
	s_barrier_signal -1
	s_barrier_wait -1
	global_inv scope:SCOPE_SE
	global_load_b32 v27, v[27:28], off offset:4356
	v_lshlrev_b32_e32 v28, 2, v52
	s_add_nc_u64 s[0:1], s[8:9], 0x1104
	s_clause 0x7
	global_load_b32 v97, v28, s[0:1] offset:1452
	global_load_b32 v98, v28, s[0:1] offset:484
	global_load_b32 v99, v28, s[0:1] offset:3872
	global_load_b32 v100, v28, s[0:1] offset:2904
	global_load_b32 v101, v28, s[0:1] offset:1936
	global_load_b32 v102, v28, s[0:1] offset:3388
	global_load_b32 v103, v28, s[0:1] offset:2420
	global_load_b32 v104, v28, s[0:1] offset:968
	ds_load_2addr_b32 v[30:31], v40 offset1:121
	ds_load_b32 v105, v40 offset:3872
	v_add_nc_u32_e32 v106, 0xa00, v40
	v_add_nc_u32_e32 v107, 0x600, v40
	;; [unrolled: 1-line block ×4, first 2 shown]
	s_wait_dscnt 0x1
	v_lshrrev_b32_e32 v32, 16, v30
	v_lshrrev_b32_e32 v108, 16, v31
	s_wait_dscnt 0x0
	v_lshrrev_b32_e32 v109, 16, v105
	s_wait_loadcnt 0x7
	v_lshrrev_b32_e32 v110, 16, v97
	v_lshrrev_b32_e32 v28, 16, v27
	s_wait_loadcnt 0x5
	v_lshrrev_b32_e32 v111, 16, v99
	s_wait_loadcnt 0x4
	;; [unrolled: 2-line block ×3, first 2 shown]
	v_lshrrev_b32_e32 v115, 16, v101
	v_mul_f16_e32 v33, v32, v28
	v_mul_f16_e32 v34, v30, v28
	v_add_nc_u32_e32 v28, 0x200, v40
	v_mul_f16_e32 v114, v109, v111
	v_mul_f16_e32 v111, v105, v111
	v_fma_f16 v30, v30, v27, -v33
	v_fmac_f16_e32 v34, v32, v27
	v_add_nc_u32_e32 v27, 0x800, v40
	s_delay_alu instid0(VALU_DEP_4) | instskip(NEXT) | instid1(VALU_DEP_3)
	v_fmac_f16_e32 v111, v109, v99
	v_pack_b32_f16 v30, v30, v34
	ds_store_b32 v40, v30
	ds_load_2addr_b32 v[32:33], v28 offset0:114 offset1:235
	ds_load_2addr_b32 v[34:35], v106 offset0:86 offset1:207
	;; [unrolled: 1-line block ×3, first 2 shown]
	v_lshrrev_b32_e32 v30, 16, v98
	s_delay_alu instid0(VALU_DEP_1) | instskip(SKIP_1) | instid1(VALU_DEP_2)
	v_mul_f16_e32 v113, v108, v30
	v_mul_f16_e32 v30, v31, v30
	v_fma_f16 v31, v31, v98, -v113
	s_delay_alu instid0(VALU_DEP_2)
	v_fmac_f16_e32 v30, v108, v98
	v_fma_f16 v98, v105, v99, -v114
	s_wait_loadcnt 0x0
	v_lshrrev_b32_e32 v105, 16, v104
	v_lshrrev_b32_e32 v108, 16, v103
	;; [unrolled: 1-line block ×3, first 2 shown]
	v_pack_b32_f16 v30, v31, v30
	v_pack_b32_f16 v31, v98, v111
	s_wait_dscnt 0x2
	v_lshrrev_b32_e32 v98, 16, v33
	v_mul_f16_e32 v109, v33, v110
	s_wait_dscnt 0x1
	v_lshrrev_b32_e32 v111, 16, v34
	v_mul_f16_e32 v113, v34, v112
	s_wait_dscnt 0x0
	v_lshrrev_b32_e32 v114, 16, v36
	v_lshrrev_b32_e32 v119, 16, v32
	;; [unrolled: 1-line block ×4, first 2 shown]
	v_mul_f16_e32 v116, v36, v115
	v_mul_f16_e32 v110, v98, v110
	v_fmac_f16_e32 v109, v98, v97
	v_mul_f16_e32 v98, v111, v112
	v_fmac_f16_e32 v113, v111, v100
	v_mul_f16_e32 v111, v114, v115
	v_mul_f16_e32 v120, v32, v105
	;; [unrolled: 1-line block ×7, first 2 shown]
	v_fmac_f16_e32 v116, v114, v101
	v_fma_f16 v33, v33, v97, -v110
	v_fma_f16 v36, v36, v101, -v111
	v_fmac_f16_e32 v120, v119, v104
	v_fma_f16 v32, v32, v104, -v105
	v_fmac_f16_e32 v122, v121, v103
	v_fma_f16 v34, v34, v100, -v98
	v_fma_f16 v37, v37, v103, -v108
	v_fmac_f16_e32 v118, v117, v102
	v_fma_f16 v35, v35, v102, -v99
	v_pack_b32_f16 v33, v33, v109
	v_pack_b32_f16 v36, v36, v116
	;; [unrolled: 1-line block ×6, first 2 shown]
	ds_store_2addr_b32 v95, v33, v36 offset0:107 offset1:228
	ds_store_2addr_b32 v40, v30, v32 offset0:121 offset1:242
	;; [unrolled: 1-line block ×4, first 2 shown]
	global_wb scope:SCOPE_SE
	s_wait_dscnt 0x0
	s_barrier_signal -1
	s_barrier_wait -1
	global_inv scope:SCOPE_SE
	ds_load_2addr_b32 v[31:32], v40 offset1:121
	ds_load_2addr_b32 v[33:34], v28 offset0:114 offset1:235
	ds_load_2addr_b32 v[35:36], v106 offset0:86 offset1:207
	ds_load_2addr_b32 v[97:98], v107 offset0:100 offset1:221
	ds_load_b32 v99, v40 offset:3872
	global_wb scope:SCOPE_SE
	s_wait_dscnt 0x0
	s_barrier_signal -1
	s_barrier_wait -1
	global_inv scope:SCOPE_SE
	v_pk_add_f16 v30, v31, v34
	v_pk_add_f16 v37, v34, v35
	v_pk_add_f16 v34, v34, v35 neg_lo:[0,1] neg_hi:[0,1]
	v_pk_add_f16 v100, v32, v97
	v_pk_add_f16 v101, v97, v36
	v_pk_add_f16 v97, v97, v36 neg_lo:[0,1] neg_hi:[0,1]
	;; [unrolled: 3-line block ×3, first 2 shown]
	v_pk_add_f16 v30, v30, v35
	v_pk_fma_f16 v35, v37, 0.5, v31 op_sel_hi:[1,0,1] neg_lo:[1,0,0] neg_hi:[1,0,0]
	v_pk_mul_f16 v104, 0x3aee, v34 op_sel_hi:[0,1]
	v_pk_fma_f16 v101, v101, 0.5, v32 op_sel_hi:[1,0,1] neg_lo:[1,0,0] neg_hi:[1,0,0]
	v_pk_fma_f16 v33, v103, 0.5, v33 op_sel_hi:[1,0,1] neg_lo:[1,0,0] neg_hi:[1,0,0]
	v_pk_mul_f16 v103, 0x3aee, v97 op_sel_hi:[0,1]
	v_pk_add_f16 v37, v100, v36
	v_pk_add_f16 v31, v35, v104 op_sel:[0,1] op_sel_hi:[1,0] neg_lo:[0,1] neg_hi:[0,1]
	v_pk_add_f16 v36, v35, v104 op_sel:[0,1] op_sel_hi:[1,0]
	v_pk_fma_f16 v97, 0x3aee, v98, v33 op_sel:[0,0,1] op_sel_hi:[0,1,0] neg_lo:[0,1,0] neg_hi:[0,1,0]
	v_pk_add_f16 v34, v101, v103 op_sel:[0,1] op_sel_hi:[1,0] neg_lo:[0,1] neg_hi:[0,1]
	v_pk_add_f16 v35, v101, v103 op_sel:[0,1] op_sel_hi:[1,0]
	v_pk_add_f16 v32, v102, v99
	v_pk_fma_f16 v98, 0x3aee, v98, v33 op_sel:[0,0,1] op_sel_hi:[0,1,0]
	v_lshrrev_b32_e32 v33, 16, v97
	v_lshrrev_b32_e32 v101, 16, v31
	;; [unrolled: 1-line block ×5, first 2 shown]
	v_bfi_b32 v103, 0xffff, v36, v31
	v_bfi_b32 v104, 0xffff, v31, v36
	;; [unrolled: 1-line block ×4, first 2 shown]
	v_alignbit_b32 v107, v97, v98, 16
	v_alignbit_b32 v108, v98, v97, 16
	ds_store_b32 v64, v30
	ds_store_2addr_b32 v64, v104, v103 offset0:1 offset1:2
	ds_store_b32 v63, v37
	ds_store_2addr_b32 v63, v106, v105 offset0:1 offset1:2
	ds_store_b32 v62, v32
	ds_store_2addr_b32 v62, v108, v107 offset0:1 offset1:2
	global_wb scope:SCOPE_SE
	s_wait_dscnt 0x0
	s_barrier_signal -1
	s_barrier_wait -1
	global_inv scope:SCOPE_SE
	s_and_saveexec_b32 s0, vcc_lo
	s_cbranch_execz .LBB0_11
; %bb.10:
	ds_load_2addr_b32 v[30:31], v40 offset1:99
	ds_load_2addr_b32 v[36:37], v28 offset0:70 offset1:169
	ds_load_2addr_b32 v[34:35], v95 offset0:140 offset1:239
	;; [unrolled: 1-line block ×3, first 2 shown]
	ds_load_b32 v39, v40 offset:3960
	ds_load_2addr_b32 v[32:33], v27 offset0:82 offset1:181
	s_wait_dscnt 0x5
	v_lshrrev_b32_e32 v102, 16, v31
	s_wait_dscnt 0x4
	v_lshrrev_b32_e32 v101, 16, v36
	;; [unrolled: 2-line block ×3, first 2 shown]
	v_lshrrev_b32_e32 v99, 16, v35
	s_wait_dscnt 0x2
	v_lshrrev_b32_e32 v97, 16, v28
	v_lshrrev_b32_e32 v38, 16, v29
	s_wait_dscnt 0x1
	v_lshrrev_b32_e32 v94, 16, v39
	s_wait_dscnt 0x0
	v_alignbit_b32 v98, v28, v33, 16
.LBB0_11:
	s_wait_alu 0xfffe
	s_or_b32 exec_lo, exec_lo, s0
	v_mul_f16_e32 v63, v74, v102
	v_mul_f16_e32 v27, v74, v31
	v_lshrrev_b32_e32 v28, 16, v37
	v_mul_f16_e32 v74, v73, v101
	v_mul_f16_e32 v73, v73, v36
	v_fmac_f16_e32 v63, v4, v31
	v_fma_f16 v64, v4, v102, -v27
	v_mul_f16_e32 v62, v72, v28
	v_mul_f16_e32 v4, v72, v37
	v_fmac_f16_e32 v74, v5, v36
	v_fma_f16 v72, v5, v101, -v73
	v_mul_f16_e32 v36, v71, v100
	v_fmac_f16_e32 v62, v6, v37
	v_fma_f16 v37, v6, v28, -v4
	v_lshrrev_b32_e32 v4, 16, v32
	v_mul_f16_e32 v5, v71, v34
	v_mul_f16_e32 v71, v70, v99
	v_mul_f16_e32 v6, v70, v35
	v_fmac_f16_e32 v36, v7, v34
	v_mul_f16_e32 v34, v69, v4
	v_fma_f16 v70, v7, v100, -v5
	v_mul_f16_e32 v5, v69, v32
	v_fmac_f16_e32 v71, v0, v35
	v_fma_f16 v35, v0, v99, -v6
	v_mul_f16_e32 v0, v68, v39
	v_fmac_f16_e32 v34, v1, v32
	v_fma_f16 v69, v1, v4, -v5
	v_mul_f16_e32 v73, v67, v98
	v_mul_f16_e32 v1, v67, v33
	v_mul_f16_e32 v32, v68, v94
	v_fma_f16 v7, v18, v94, -v0
	v_lshrrev_b32_e32 v0, 16, v98
	v_mul_f16_e32 v4, v65, v29
	v_mul_f16_e32 v67, v66, v97
	v_fmac_f16_e32 v73, v2, v33
	v_fmac_f16_e32 v32, v18, v39
	v_sub_f16_e32 v104, v64, v7
	v_fma_f16 v68, v2, v98, -v1
	v_mul_f16_e32 v2, v66, v0
	v_add_f16_e32 v111, v7, v64
	v_mul_f16_e32 v65, v65, v38
	v_fma_f16 v33, v17, v38, -v4
	v_fmac_f16_e32 v67, v3, v0
	v_add_f16_e32 v0, v32, v63
	v_mul_f16_e32 v94, 0xb853, v104
	v_sub_f16_e32 v1, v63, v32
	v_mul_f16_e32 v96, 0x3abb, v111
	v_fma_f16 v66, v3, v97, -v2
	v_fmac_f16_e32 v65, v17, v29
	v_sub_f16_e32 v108, v72, v33
	v_add_f16_e32 v117, v33, v72
	v_fma_f16 v5, v0, 0x3abb, -v94
	v_fmamk_f16 v6, v1, 0xb853, v96
	v_lshrrev_b32_e32 v3, 16, v30
	v_mul_f16_e32 v103, 0xbb47, v104
	v_mul_f16_e32 v106, 0x36a6, v111
	v_add_f16_e32 v2, v65, v74
	v_mul_f16_e32 v95, 0xbb47, v108
	v_sub_f16_e32 v4, v74, v65
	v_mul_f16_e32 v97, 0x36a6, v117
	v_add_f16_e32 v120, v66, v37
	v_add_f16_e32 v5, v30, v5
	v_fma_f16 v17, v0, 0x36a6, -v103
	v_fmamk_f16 v18, v1, 0xbb47, v106
	v_fma_f16 v27, v2, 0x36a6, -v95
	v_add_f16_e32 v28, v3, v6
	v_fmamk_f16 v29, v4, 0xbb47, v97
	v_sub_f16_e32 v114, v37, v66
	v_mul_f16_e32 v107, 0xba0c, v108
	v_mul_f16_e32 v112, 0xb93d, v117
	v_sub_f16_e32 v6, v62, v67
	v_mul_f16_e32 v99, 0xb08e, v120
	v_add_f16_e32 v17, v30, v17
	v_add_f16_e32 v18, v3, v18
	;; [unrolled: 1-line block ×4, first 2 shown]
	v_mul_f16_e32 v98, 0xbbeb, v114
	v_fma_f16 v31, v2, 0xb93d, -v107
	v_fmamk_f16 v38, v4, 0xba0c, v112
	v_add_f16_e32 v28, v29, v28
	v_fmamk_f16 v29, v6, 0xbbeb, v99
	v_mul_f16_e32 v109, 0x3482, v114
	v_sub_f16_e32 v116, v70, v68
	v_add_f16_e32 v122, v68, v70
	v_fma_f16 v39, v5, 0xb08e, -v98
	v_add_f16_e32 v31, v31, v17
	v_add_f16_e32 v38, v38, v18
	v_add_f16_e32 v28, v29, v28
	v_mul_f16_e32 v115, 0xbbad, v120
	v_fma_f16 v29, v5, 0xbbad, -v109
	v_add_f16_e32 v17, v73, v36
	v_mul_f16_e32 v100, 0xba0c, v116
	v_sub_f16_e32 v18, v36, v73
	v_mul_f16_e32 v101, 0xb93d, v122
	v_mul_f16_e32 v113, 0x3beb, v116
	v_add_f16_e32 v27, v39, v27
	v_fmamk_f16 v39, v6, 0x3482, v115
	v_fma_f16 v102, v17, 0xb93d, -v100
	v_add_f16_e32 v29, v29, v31
	v_fmamk_f16 v31, v18, 0xba0c, v101
	v_fma_f16 v105, v17, 0xb08e, -v113
	v_mul_f16_e32 v118, 0xb08e, v122
	v_sub_f16_e32 v119, v35, v69
	v_add_f16_e32 v123, v69, v35
	v_add_f16_e32 v124, v39, v38
	;; [unrolled: 1-line block ×5, first 2 shown]
	v_fmamk_f16 v31, v18, 0x3beb, v118
	v_add_f16_e32 v38, v34, v71
	v_sub_f16_e32 v39, v71, v34
	v_mul_f16_e32 v102, 0xb482, v119
	v_mul_f16_e32 v105, 0xbbad, v123
	;; [unrolled: 1-line block ×4, first 2 shown]
	v_add_f16_e32 v124, v31, v124
	v_fma_f16 v31, v38, 0xbbad, -v102
	v_fmamk_f16 v125, v39, 0xb482, v105
	v_fma_f16 v126, v38, 0x3abb, -v110
	v_fmamk_f16 v127, v39, 0x3853, v121
	global_wb scope:SCOPE_SE
	v_add_f16_e32 v27, v31, v27
	v_add_f16_e32 v31, v125, v28
	;; [unrolled: 1-line block ×4, first 2 shown]
	s_barrier_signal -1
	s_barrier_wait -1
	global_inv scope:SCOPE_SE
	s_and_saveexec_b32 s0, vcc_lo
	s_cbranch_execz .LBB0_13
; %bb.12:
	v_mul_f16_e64 v134, 0xbbad, v111
	v_mul_f16_e32 v126, 0x36a6, v0
	v_mul_f16_e64 v140, 0x3abb, v117
	v_mul_f16_e64 v130, 0xb93d, v2
	;; [unrolled: 1-line block ×3, first 2 shown]
	v_fma_f16 v139, 0x3482, v1, v134
	v_add_f16_e32 v103, v126, v103
	v_fma_f16 v144, 0xb853, v4, v140
	v_mul_f16_e64 v148, 0xb482, v104
	v_mul_f16_e64 v135, 0xbbad, v5
	v_add_f16_e64 v139, v3, v139
	v_add_f16_e32 v103, v30, v103
	v_add_f16_e64 v107, v130, v107
	v_add_f16_e32 v63, v30, v63
	v_mul_f16_e64 v149, 0x36a6, v122
	v_add_f16_e64 v139, v144, v139
	v_fma_f16 v144, 0x3a0c, v6, v145
	v_fma_f16 v151, 0xbbad, v0, v148
	v_mul_f16_e64 v152, 0x3853, v108
	v_mul_f16_e32 v125, 0xb853, v1
	v_mul_f16_e64 v141, 0xb08e, v17
	v_add_f16_e32 v103, v107, v103
	v_add_f16_e64 v107, v135, v109
	v_add_f16_e32 v63, v74, v63
	v_add_f16_e32 v64, v64, v3
	v_add_f16_e64 v139, v144, v139
	v_fma_f16 v144, 0xbb47, v18, v149
	v_mul_f16_e64 v153, 0xb08e, v123
	v_add_f16_e64 v151, v30, v151
	v_fma_f16 v154, 0x3abb, v2, v152
	v_mul_f16_e64 v155, 0xba0c, v114
	v_mul_f16_e32 v124, 0x3abb, v0
	v_mul_f16_e64 v129, 0xbb47, v4
	v_mul_f16_e64 v147, 0x3abb, v38
	v_add_f16_e32 v103, v107, v103
	v_add_f16_e64 v107, v141, v113
	v_sub_f16_e32 v96, v96, v125
	v_add_f16_e32 v62, v62, v63
	v_add_f16_e32 v63, v72, v64
	v_add_f16_e64 v139, v144, v139
	v_fma_f16 v144, 0x3beb, v39, v153
	v_mul_f16_e64 v156, 0xb93d, v111
	v_add_f16_e64 v151, v154, v151
	v_fma_f16 v154, 0xb93d, v5, v155
	v_mul_f16_e64 v157, 0x3b47, v116
	v_mul_f16_e64 v128, 0x36a6, v2
	;; [unrolled: 1-line block ×3, first 2 shown]
	v_add_f16_e32 v103, v107, v103
	v_add_f16_e64 v74, v147, v110
	v_add_f16_e32 v96, v3, v96
	v_sub_f16_e64 v97, v97, v129
	v_add_f16_e32 v72, v124, v94
	v_add_f16_e32 v36, v36, v62
	;; [unrolled: 1-line block ×3, first 2 shown]
	v_add_f16_e64 v139, v144, v139
	v_fma_f16 v144, 0x3a0c, v1, v156
	v_mul_f16_e64 v158, 0xb08e, v117
	v_add_f16_e64 v151, v154, v151
	v_fma_f16 v154, 0x36a6, v17, v157
	v_mul_f16_e64 v159, 0xbbeb, v119
	v_mul_f16_e64 v132, 0xb08e, v5
	;; [unrolled: 1-line block ×3, first 2 shown]
	v_add_f16_e32 v64, v74, v103
	v_add_f16_e32 v74, v97, v96
	v_sub_f16_e64 v62, v99, v133
	v_add_f16_e32 v63, v30, v72
	v_add_f16_e64 v72, v128, v95
	v_add_f16_e32 v36, v71, v36
	v_add_f16_e32 v37, v70, v37
	v_add_f16_e64 v144, v3, v144
	v_fma_f16 v160, 0xbbeb, v4, v158
	v_mul_f16_e64 v161, 0x3abb, v120
	v_add_f16_e64 v151, v154, v151
	v_fma_f16 v154, 0xb08e, v38, v159
	v_mul_f16_e64 v162, 0xba0c, v104
	v_mul_f16_e64 v137, 0xb93d, v17
	;; [unrolled: 1-line block ×3, first 2 shown]
	v_add_f16_e32 v62, v62, v74
	v_sub_f16_e64 v70, v101, v138
	v_add_f16_e32 v63, v72, v63
	v_add_f16_e32 v34, v34, v36
	;; [unrolled: 1-line block ×3, first 2 shown]
	v_add_f16_e64 v36, v132, v98
	v_add_f16_e64 v144, v160, v144
	v_fma_f16 v160, 0x3853, v6, v161
	v_mul_f16_e64 v163, 0xbbad, v122
	v_add_f16_e64 v151, v154, v151
	v_fma_f16 v154, 0xb93d, v0, v162
	v_mul_f16_e64 v164, 0x3beb, v108
	v_mul_f16_e64 v143, 0xbbad, v38
	v_add_f16_e32 v37, v70, v62
	v_sub_f16_e64 v62, v105, v146
	v_add_f16_e32 v34, v73, v34
	v_add_f16_e32 v35, v69, v35
	;; [unrolled: 1-line block ×3, first 2 shown]
	v_add_f16_e64 v63, v137, v100
	v_add_f16_e64 v144, v160, v144
	v_fma_f16 v160, 0x3482, v18, v163
	v_mul_f16_e64 v165, 0x36a6, v123
	v_add_f16_e64 v154, v30, v154
	v_fma_f16 v166, 0xb08e, v2, v164
	v_mul_f16_e64 v167, 0xb853, v114
	v_add_f16_e32 v37, v62, v37
	v_add_f16_e32 v34, v67, v34
	;; [unrolled: 1-line block ×3, first 2 shown]
	v_fmac_f16_e64 v134, 0xb482, v1
	v_add_f16_e32 v36, v63, v36
	v_add_f16_e64 v62, v143, v102
	v_add_f16_e64 v144, v160, v144
	v_fma_f16 v160, 0xbb47, v39, v165
	v_mul_f16_e32 v111, 0xb08e, v111
	v_add_f16_e64 v154, v166, v154
	v_fma_f16 v166, 0x3abb, v5, v167
	v_mul_f16_e64 v168, 0xb482, v116
	v_add_f16_e32 v34, v65, v34
	v_add_f16_e32 v35, v66, v35
	v_add_f16_e64 v63, v3, v134
	v_fmac_f16_e64 v140, 0x3853, v4
	v_add_f16_e32 v36, v62, v36
	v_fma_f16 v62, v0, 0xbbad, -v148
	v_add_f16_e64 v144, v160, v144
	v_fma_f16 v160, 0x3beb, v1, v111
	v_mul_f16_e32 v117, 0xbbad, v117
	v_add_f16_e64 v154, v166, v154
	v_fma_f16 v166, 0xbbad, v17, v168
	v_mul_f16_e64 v169, 0x3b47, v119
	v_add_f16_e32 v32, v32, v34
	v_add_f16_e32 v33, v33, v35
	v_add_f16_e64 v34, v140, v63
	v_fmac_f16_e64 v145, 0xba0c, v6
	v_add_f16_e32 v35, v30, v62
	v_fma_f16 v62, v2, 0x3abb, -v152
	v_fmac_f16_e64 v156, 0xba0c, v1
	v_mul_f16_e32 v127, 0xbb47, v1
	v_add_f16_e64 v160, v3, v160
	v_fma_f16 v170, 0xb482, v4, v117
	v_mul_f16_e32 v120, 0x36a6, v120
	v_add_f16_e64 v154, v166, v154
	v_fma_f16 v166, 0x36a6, v38, v169
	v_mul_f16_e32 v104, 0xbbeb, v104
	v_add_f16_e32 v7, v7, v33
	v_add_f16_e64 v33, v145, v34
	v_add_f16_e32 v34, v62, v35
	v_fma_f16 v35, v5, 0xb93d, -v155
	v_add_f16_e64 v62, v3, v156
	v_fmac_f16_e64 v158, 0x3beb, v4
	v_mul_f16_e64 v131, 0xba0c, v4
	v_add_f16_e64 v160, v170, v160
	v_fma_f16 v170, 0xbb47, v6, v120
	v_mul_f16_e32 v122, 0x3abb, v122
	v_add_f16_e64 v154, v166, v154
	v_fma_f16 v166, 0xb08e, v0, v104
	v_mul_f16_e32 v108, 0x3482, v108
	v_sub_f16_e32 v106, v106, v127
	v_add_f16_e32 v34, v35, v34
	v_fma_f16 v35, v17, 0x36a6, -v157
	v_add_f16_e64 v62, v158, v62
	v_fmac_f16_e64 v161, 0xb853, v6
	v_fma_f16 v63, v0, 0xb93d, -v162
	v_fmac_f16_e32 v111, 0xbbeb, v1
	v_fma_f16 v0, v0, 0xb08e, -v104
	v_mul_f16_e64 v136, 0x3482, v6
	v_add_f16_e64 v160, v170, v160
	v_fma_f16 v170, 0x3853, v18, v122
	v_add_f16_e64 v166, v30, v166
	v_fma_f16 v171, 0xbbad, v2, v108
	v_mul_f16_e32 v114, 0x3b47, v114
	v_add_f16_e32 v106, v3, v106
	v_sub_f16_e64 v112, v112, v131
	v_add_f16_e32 v34, v35, v34
	v_fma_f16 v35, v38, 0xb08e, -v159
	v_add_f16_e64 v62, v161, v62
	v_fmac_f16_e64 v163, 0xb482, v18
	v_add_f16_e32 v63, v30, v63
	v_fma_f16 v65, v2, 0xb08e, -v164
	v_add_f16_e32 v3, v3, v111
	v_fmac_f16_e32 v117, 0x3482, v4
	v_add_f16_e32 v0, v30, v0
	v_fma_f16 v2, v2, 0xbbad, -v108
	v_mul_f16_e64 v142, 0x3beb, v18
	v_add_f16_e64 v127, v170, v160
	v_add_f16_e64 v166, v171, v166
	v_fma_f16 v170, 0x36a6, v5, v114
	v_mul_f16_e32 v116, 0xb853, v116
	v_add_f16_e32 v106, v112, v106
	v_sub_f16_e64 v112, v115, v136
	v_add_f16_e32 v34, v35, v34
	v_add_f16_e64 v1, v163, v62
	v_add_f16_e32 v35, v65, v63
	v_fma_f16 v62, v5, 0x3abb, -v167
	v_add_f16_e32 v3, v117, v3
	v_fmac_f16_e32 v120, 0x3b47, v6
	v_add_f16_e32 v0, v2, v0
	v_fma_f16 v2, v5, 0x36a6, -v114
	v_mul_f16_e64 v150, 0x3853, v39
	v_mul_f16_e32 v123, 0xb93d, v123
	v_add_f16_e64 v126, v170, v166
	v_fmamk_f16 v115, v17, 0x3abb, v116
	v_mul_f16_e32 v119, 0xba0c, v119
	v_add_f16_e32 v106, v112, v106
	v_sub_f16_e64 v112, v118, v142
	v_fmac_f16_e64 v149, 0x3b47, v18
	v_add_f16_e32 v4, v62, v35
	v_fma_f16 v30, v17, 0xbbad, -v168
	v_add_f16_e32 v3, v120, v3
	v_fmac_f16_e32 v122, 0xb853, v18
	v_add_f16_e32 v0, v2, v0
	v_fma_f16 v2, v17, 0x3abb, -v116
	v_fma_f16 v160, 0x3a0c, v39, v123
	v_add_f16_e32 v109, v115, v126
	v_fmamk_f16 v115, v38, 0xb93d, v119
	v_add_f16_e32 v106, v112, v106
	v_sub_f16_e64 v112, v121, v150
	v_mul_u32_u24_e32 v6, 33, v61
	v_add_f16_e64 v33, v149, v33
	v_fmac_f16_e64 v153, 0xbbeb, v39
	v_fmac_f16_e64 v165, 0x3b47, v39
	v_add_f16_e32 v4, v30, v4
	v_fma_f16 v5, v38, 0x36a6, -v169
	v_add_f16_e32 v3, v122, v3
	v_fmac_f16_e32 v123, 0xba0c, v39
	v_add_f16_e32 v0, v2, v0
	v_fma_f16 v2, v38, 0xb93d, -v119
	v_add_f16_e64 v127, v160, v127
	v_add_f16_e32 v109, v115, v109
	v_add_f16_e32 v106, v112, v106
	v_add_lshl_u32 v6, v6, v60, 2
	v_pack_b32_f16 v7, v32, v7
	v_pack_b32_f16 v17, v36, v37
	v_add_f16_e64 v33, v153, v33
	v_add_f16_e64 v1, v165, v1
	v_add_f16_e32 v4, v5, v4
	v_add_f16_e32 v3, v123, v3
	;; [unrolled: 1-line block ×3, first 2 shown]
	v_pack_b32_f16 v2, v64, v106
	v_pack_b32_f16 v5, v109, v127
	ds_store_2addr_b32 v6, v7, v17 offset1:3
	v_pack_b32_f16 v7, v154, v144
	v_pack_b32_f16 v17, v151, v139
	;; [unrolled: 1-line block ×5, first 2 shown]
	v_perm_b32 v3, v28, v29, 0x5040100
	v_perm_b32 v4, v31, v27, 0x5040100
	ds_store_2addr_b32 v6, v2, v5 offset0:6 offset1:9
	ds_store_2addr_b32 v6, v7, v17 offset0:12 offset1:15
	ds_store_2addr_b32 v6, v18, v1 offset0:18 offset1:21
	ds_store_2addr_b32 v6, v0, v3 offset0:24 offset1:27
	ds_store_b32 v6, v4 offset:120
.LBB0_13:
	s_wait_alu 0xfffe
	s_or_b32 exec_lo, exec_lo, s0
	v_add_nc_u32_e32 v34, 0x200, v40
	v_add_nc_u32_e32 v0, 0xa00, v40
	;; [unrolled: 1-line block ×3, first 2 shown]
	global_wb scope:SCOPE_SE
	s_wait_dscnt 0x0
	s_barrier_signal -1
	s_barrier_wait -1
	global_inv scope:SCOPE_SE
	ds_load_2addr_b32 v[2:3], v40 offset1:121
	ds_load_b32 v17, v40 offset:3872
	ds_load_2addr_b32 v[4:5], v34 offset0:114 offset1:235
	ds_load_2addr_b32 v[0:1], v0 offset0:86 offset1:207
	;; [unrolled: 1-line block ×3, first 2 shown]
	global_wb scope:SCOPE_SE
	s_wait_dscnt 0x0
	s_barrier_signal -1
	s_barrier_wait -1
	global_inv scope:SCOPE_SE
	v_lshrrev_b32_e32 v18, 16, v17
	v_lshrrev_b32_e32 v35, 16, v5
	;; [unrolled: 1-line block ×5, first 2 shown]
	v_mul_f16_e32 v60, v88, v5
	v_mul_f16_e32 v61, v89, v0
	;; [unrolled: 1-line block ×3, first 2 shown]
	v_lshrrev_b32_e32 v39, 16, v7
	v_mul_f16_e32 v64, v88, v35
	v_fma_f16 v35, v23, v35, -v60
	v_mul_f16_e32 v60, v89, v36
	v_fma_f16 v36, v24, v36, -v61
	;; [unrolled: 2-line block ×3, first 2 shown]
	v_mul_f16_e32 v62, v91, v38
	v_mul_f16_e32 v63, v91, v1
	;; [unrolled: 1-line block ×3, first 2 shown]
	v_fmac_f16_e32 v64, v23, v5
	v_fmac_f16_e32 v60, v24, v0
	;; [unrolled: 1-line block ×3, first 2 shown]
	v_mul_f16_e32 v0, v92, v7
	v_mul_f16_e32 v24, v87, v18
	v_mul_f16_e32 v1, v87, v17
	v_lshrrev_b32_e32 v33, 16, v2
	v_fma_f16 v5, v22, v38, -v63
	v_fmac_f16_e32 v65, v19, v7
	v_fma_f16 v38, v19, v39, -v0
	v_add_f16_e32 v0, v64, v60
	v_fmac_f16_e32 v24, v20, v17
	v_add_f16_e32 v7, v2, v64
	v_fma_f16 v20, v20, v18, -v1
	v_add_f16_e32 v1, v35, v36
	v_fmac_f16_e32 v61, v21, v6
	v_fma_f16 v6, -0.5, v0, v2
	v_add_f16_e32 v0, v7, v60
	v_add_f16_e32 v7, v33, v35
	v_fmac_f16_e32 v33, -0.5, v1
	v_sub_f16_e32 v17, v64, v60
	v_lshrrev_b32_e32 v30, 16, v3
	v_sub_f16_e32 v2, v35, v36
	v_lshrrev_b32_e32 v32, 16, v4
	v_add_f16_e32 v19, v7, v36
	v_fmamk_f16 v23, v17, 0x3aee, v33
	v_fmac_f16_e32 v33, 0xbaee, v17
	v_add_f16_e32 v17, v37, v5
	v_fmamk_f16 v1, v2, 0xbaee, v6
	v_fmac_f16_e32 v6, 0x3aee, v2
	v_add_f16_e32 v2, v61, v62
	v_add_f16_e32 v21, v30, v37
	v_fmac_f16_e32 v30, -0.5, v17
	v_sub_f16_e32 v17, v61, v62
	v_add_f16_e32 v7, v3, v61
	v_fmac_f16_e32 v3, -0.5, v2
	v_sub_f16_e32 v18, v37, v5
	v_add_f16_e32 v22, v21, v5
	v_add_f16_e32 v5, v65, v24
	v_fmamk_f16 v21, v17, 0x3aee, v30
	v_fmac_f16_e32 v30, 0xbaee, v17
	v_add_f16_e32 v17, v38, v20
	v_fmamk_f16 v2, v18, 0xbaee, v3
	v_fmac_f16_e32 v3, 0x3aee, v18
	v_add_f16_e32 v18, v4, v65
	v_fmac_f16_e32 v4, -0.5, v5
	v_sub_f16_e32 v5, v38, v20
	v_add_f16_e32 v35, v32, v38
	v_fmac_f16_e32 v32, -0.5, v17
	v_sub_f16_e32 v36, v65, v24
	v_add_f16_e32 v17, v18, v24
	v_fmamk_f16 v18, v5, 0xbaee, v4
	v_fmac_f16_e32 v4, 0x3aee, v5
	v_add_f16_e32 v20, v35, v20
	v_pack_b32_f16 v5, v0, v19
	v_pack_b32_f16 v35, v1, v23
	v_add_f16_e32 v7, v7, v62
	v_fmamk_f16 v24, v36, 0x3aee, v32
	v_fmac_f16_e32 v32, 0xbaee, v36
	v_pack_b32_f16 v36, v2, v21
	ds_store_2addr_b32 v77, v5, v35 offset1:33
	v_pack_b32_f16 v5, v6, v33
	v_pack_b32_f16 v35, v7, v22
	;; [unrolled: 1-line block ×6, first 2 shown]
	ds_store_b32 v77, v5 offset:264
	ds_store_2addr_b32 v76, v35, v36 offset1:33
	ds_store_b32 v76, v37 offset:264
	ds_store_2addr_b32 v75, v38, v39 offset1:33
	ds_store_b32 v75, v60 offset:264
	global_wb scope:SCOPE_SE
	s_wait_dscnt 0x0
	s_barrier_signal -1
	s_barrier_wait -1
	global_inv scope:SCOPE_SE
	s_and_saveexec_b32 s0, vcc_lo
	s_cbranch_execz .LBB0_15
; %bb.14:
	v_add_nc_u32_e32 v2, 0x400, v40
	v_add_nc_u32_e32 v4, 0x800, v40
	;; [unrolled: 1-line block ×3, first 2 shown]
	ds_load_2addr_b32 v[0:1], v40 offset1:99
	ds_load_2addr_b32 v[6:7], v34 offset0:70 offset1:169
	ds_load_b32 v27, v40 offset:3960
	ds_load_2addr_b32 v[2:3], v2 offset0:140 offset1:239
	ds_load_2addr_b32 v[17:18], v4 offset0:82 offset1:181
	;; [unrolled: 1-line block ×3, first 2 shown]
	s_wait_dscnt 0x3
	v_lshrrev_b32_e32 v31, 16, v27
	v_lshrrev_b32_e32 v19, 16, v0
	;; [unrolled: 1-line block ×3, first 2 shown]
	s_wait_dscnt 0x0
	v_mov_b32_e32 v29, v5
	v_lshrrev_b32_e32 v33, 16, v6
	v_lshrrev_b32_e32 v22, 16, v7
	;; [unrolled: 1-line block ×8, first 2 shown]
.LBB0_15:
	s_wait_alu 0xfffe
	s_or_b32 exec_lo, exec_lo, s0
	s_and_saveexec_b32 s0, vcc_lo
	s_cbranch_execz .LBB0_17
; %bb.16:
	v_mul_f16_e32 v5, v90, v27
	v_mul_f16_e32 v34, v86, v1
	v_mul_f16_e32 v35, v85, v29
	v_mul_f16_e32 v36, v84, v6
	v_mul_f16_e32 v38, v83, v7
	v_fma_f16 v5, v26, v31, -v5
	v_fma_f16 v34, v12, v23, -v34
	v_mul_f16_e32 v23, v86, v23
	v_mul_f16_e32 v31, v90, v31
	v_fma_f16 v35, v25, v28, -v35
	v_fma_f16 v36, v13, v33, -v36
	v_add_f16_e32 v37, v5, v34
	v_mul_f16_e32 v33, v84, v33
	v_mul_f16_e32 v28, v85, v28
	v_fmac_f16_e32 v23, v12, v1
	v_fmac_f16_e32 v31, v26, v27
	v_add_f16_e32 v12, v35, v36
	v_fmac_f16_e32 v33, v13, v6
	v_fmac_f16_e32 v28, v25, v29
	v_mul_f16_e32 v6, 0xbbad, v37
	v_sub_f16_e32 v13, v23, v31
	v_mul_f16_e32 v25, 0x3abb, v12
	v_mul_f16_e32 v29, v82, v4
	v_sub_f16_e32 v1, v33, v28
	v_mul_f16_e32 v39, v83, v22
	v_fmamk_f16 v26, v13, 0x3482, v6
	v_fma_f16 v22, v14, v22, -v38
	v_fma_f16 v29, v11, v32, -v29
	v_fmamk_f16 v27, v1, 0xb853, v25
	v_mul_f16_e32 v38, v80, v2
	v_add_f16_e32 v26, v19, v26
	v_fmac_f16_e32 v39, v14, v7
	v_sub_f16_e32 v61, v34, v5
	v_add_f16_e32 v62, v31, v23
	v_fma_f16 v7, v15, v21, -v38
	v_add_f16_e32 v26, v27, v26
	v_mul_f16_e32 v27, v82, v32
	v_mul_f16_e32 v32, v81, v18
	v_sub_f16_e32 v65, v36, v35
	v_mul_f16_e32 v90, 0xbbeb, v61
	v_mul_f16_e32 v14, v81, v24
	v_fmac_f16_e32 v27, v11, v4
	v_mul_f16_e32 v11, v80, v21
	v_fma_f16 v4, v10, v24, -v32
	v_add_f16_e32 v67, v28, v33
	v_fmamk_f16 v94, v62, 0xb08e, v90
	v_mul_f16_e32 v95, 0x3482, v65
	v_fmac_f16_e32 v11, v15, v2
	v_mul_f16_e32 v15, v78, v3
	v_mul_f16_e32 v2, v79, v17
	;; [unrolled: 1-line block ×3, first 2 shown]
	v_fmac_f16_e32 v14, v10, v18
	v_sub_f16_e32 v70, v7, v4
	v_fma_f16 v15, v8, v30, -v15
	v_mul_f16_e32 v30, v78, v30
	v_fma_f16 v2, v9, v20, -v2
	v_mul_f16_e32 v20, v79, v20
	v_add_f16_e32 v94, v0, v94
	v_fmamk_f16 v97, v67, 0xbbad, v95
	v_fmac_f16_e32 v30, v8, v3
	v_sub_f16_e32 v3, v22, v29
	v_fmac_f16_e32 v20, v9, v17
	v_add_f16_e32 v17, v27, v39
	v_add_f16_e32 v23, v0, v23
	v_fmamk_f16 v66, v62, 0xbbad, v63
	v_mul_f16_e32 v98, 0x3b47, v3
	v_mul_f16_e32 v68, 0x3853, v65
	v_add_f16_e32 v60, v29, v22
	v_add_f16_e32 v72, v14, v11
	;; [unrolled: 1-line block ×3, first 2 shown]
	v_fmamk_f16 v97, v17, 0x36a6, v98
	v_mul_f16_e32 v100, 0xb853, v70
	v_add_f16_e32 v34, v34, v19
	v_add_f16_e32 v23, v33, v23
	v_add_f16_e32 v8, v0, v66
	v_fmamk_f16 v9, v67, 0x3abb, v68
	v_mul_f16_e32 v66, 0xba0c, v3
	v_mul_f16_e32 v21, 0xb93d, v60
	v_sub_f16_e32 v24, v39, v27
	v_add_f16_e32 v32, v4, v7
	v_add_f16_e32 v94, v97, v94
	v_fmamk_f16 v97, v72, 0x3abb, v100
	v_add_f16_e32 v33, v36, v34
	v_add_f16_e32 v23, v39, v23
	v_add_f16_e32 v8, v9, v8
	v_fmamk_f16 v9, v17, 0xb93d, v66
	v_mul_f16_e32 v73, 0x3b47, v70
	v_fmamk_f16 v10, v24, 0x3a0c, v21
	v_mul_f16_e32 v18, 0x36a6, v32
	v_sub_f16_e32 v38, v11, v14
	v_add_f16_e32 v64, v2, v15
	v_mul_f16_e32 v78, 0xba0c, v61
	v_add_f16_e32 v94, v97, v94
	v_mul_f16_e32 v97, 0xbb47, v61
	v_mul_f16_e32 v61, 0xb853, v61
	v_add_f16_e32 v22, v22, v33
	v_add_f16_e32 v11, v11, v23
	;; [unrolled: 1-line block ×3, first 2 shown]
	v_fmamk_f16 v9, v72, 0x36a6, v73
	v_mul_f16_e32 v74, 0xb93d, v37
	v_add_f16_e32 v10, v10, v26
	v_fmamk_f16 v26, v38, 0xbb47, v18
	v_mul_f16_e32 v69, 0xb08e, v64
	v_sub_f16_e32 v71, v30, v20
	v_fmamk_f16 v34, v62, 0x3abb, v61
	v_mul_f16_e32 v36, 0xbb47, v65
	v_add_f16_e32 v7, v7, v22
	v_add_f16_e32 v11, v30, v11
	;; [unrolled: 1-line block ×3, first 2 shown]
	v_fmamk_f16 v9, v13, 0x3a0c, v74
	v_mul_f16_e32 v75, 0xb08e, v12
	v_add_f16_e32 v10, v26, v10
	v_fmamk_f16 v26, v71, 0x3beb, v69
	v_mul_f16_e32 v86, 0xb853, v3
	v_mul_f16_e32 v109, 0x3482, v3
	v_add_f16_e32 v33, v0, v34
	v_fmamk_f16 v34, v67, 0x36a6, v36
	v_mul_f16_e32 v3, 0xbbeb, v3
	v_add_f16_e32 v7, v15, v7
	v_add_f16_e32 v11, v20, v11
	;; [unrolled: 1-line block ×3, first 2 shown]
	v_fmamk_f16 v79, v1, 0xbbeb, v75
	v_mul_f16_e32 v80, 0x3abb, v60
	v_add_f16_e32 v10, v26, v10
	v_sub_f16_e32 v26, v15, v2
	v_add_f16_e32 v76, v20, v30
	v_add_f16_e32 v23, v34, v33
	v_fmamk_f16 v33, v17, 0xb08e, v3
	v_mul_f16_e32 v30, 0xba0c, v70
	v_add_f16_e32 v2, v2, v7
	v_add_f16_e32 v11, v14, v11
	;; [unrolled: 1-line block ×3, first 2 shown]
	v_fmamk_f16 v79, v24, 0x3853, v80
	v_mul_f16_e32 v84, 0xbbad, v32
	v_add_f16_e32 v23, v33, v23
	v_fmac_f16_e32 v6, 0xb482, v13
	v_fmamk_f16 v7, v72, 0xb93d, v30
	v_mul_f16_e32 v20, 0xb482, v26
	v_add_f16_e32 v2, v4, v2
	v_add_f16_e32 v11, v27, v11
	v_mul_f16_e32 v77, 0xbbeb, v26
	v_add_f16_e32 v9, v79, v9
	v_fmamk_f16 v79, v38, 0x3482, v84
	v_mul_f16_e32 v87, 0x36a6, v64
	v_add_f16_e32 v4, v19, v6
	v_add_f16_e32 v6, v7, v23
	v_fmamk_f16 v7, v76, 0xbbad, v20
	v_add_f16_e32 v2, v29, v2
	v_add_f16_e32 v11, v28, v11
	v_fmamk_f16 v81, v76, 0xb08e, v77
	v_add_f16_e32 v9, v79, v9
	v_fmamk_f16 v79, v71, 0xbb47, v87
	v_mul_f16_e32 v89, 0xb08e, v37
	v_add_f16_e32 v6, v7, v6
	v_add_f16_e32 v2, v35, v2
	;; [unrolled: 1-line block ×3, first 2 shown]
	v_fma_f16 v11, v62, 0xbbad, -v63
	v_add_f16_e32 v8, v81, v8
	v_add_f16_e32 v9, v79, v9
	v_fmamk_f16 v79, v13, 0x3beb, v89
	v_mul_f16_e32 v81, 0xbbad, v12
	v_fmamk_f16 v82, v62, 0xb93d, v78
	v_mul_f16_e32 v83, 0x3beb, v65
	v_add_f16_e32 v2, v5, v2
	v_add_f16_e32 v5, v0, v11
	v_fma_f16 v11, v67, 0x3abb, -v68
	v_add_f16_e32 v79, v19, v79
	v_fmamk_f16 v91, v1, 0xb482, v81
	v_mul_f16_e32 v92, 0x36a6, v60
	v_add_f16_e32 v82, v0, v82
	v_fmamk_f16 v85, v67, 0xb08e, v83
	v_add_f16_e32 v5, v11, v5
	v_fma_f16 v11, v17, 0xb93d, -v66
	v_add_f16_e32 v79, v91, v79
	v_fmamk_f16 v91, v24, 0xbb47, v92
	v_mul_f16_e32 v96, 0x3abb, v32
	v_fmamk_f16 v105, v62, 0x36a6, v97
	v_mul_f16_e32 v106, 0xba0c, v65
	v_add_f16_e32 v82, v85, v82
	v_fmamk_f16 v85, v17, 0x3abb, v86
	v_mul_f16_e32 v88, 0xb482, v70
	v_fmac_f16_e32 v25, 0x3853, v1
	v_add_f16_e32 v5, v11, v5
	v_fma_f16 v11, v72, 0x36a6, -v73
	v_add_f16_e32 v79, v91, v79
	v_fmamk_f16 v91, v38, 0x3853, v96
	v_add_f16_e32 v105, v0, v105
	v_fmamk_f16 v108, v67, 0xb93d, v106
	;; [unrolled: 2-line block ×3, first 2 shown]
	v_add_f16_e32 v4, v25, v4
	v_fmac_f16_e32 v21, 0xba0c, v24
	v_add_f16_e32 v5, v11, v5
	v_fma_f16 v11, v76, 0xb08e, -v77
	v_add_f16_e32 v79, v91, v79
	v_mul_f16_e32 v91, 0x36a6, v37
	v_add_f16_e32 v105, v108, v105
	v_fmamk_f16 v108, v17, 0xbbad, v109
	v_mul_f16_e32 v111, 0x3beb, v70
	v_mul_f16_e32 v37, 0x3abb, v37
	v_add_f16_e32 v82, v85, v82
	v_mul_f16_e32 v85, 0x3b47, v26
	v_add_f16_e32 v4, v21, v4
	v_fmac_f16_e32 v18, 0x3b47, v38
	v_add_f16_e32 v5, v11, v5
	v_fma_f16 v11, v62, 0xb08e, -v90
	v_mul_f16_e32 v102, 0xb93d, v12
	v_mul_f16_e32 v104, 0xba0c, v26
	v_add_f16_e32 v105, v108, v105
	v_fmamk_f16 v108, v72, 0xb08e, v111
	v_mul_f16_e32 v112, 0x3853, v26
	v_fmamk_f16 v113, v13, 0x3853, v37
	v_mul_f16_e32 v12, 0x36a6, v12
	;; [unrolled: 2-line block ×3, first 2 shown]
	v_add_f16_e32 v4, v18, v4
	v_fma_f16 v18, v62, 0xb93d, -v78
	v_add_f16_e32 v11, v0, v11
	v_fma_f16 v23, v67, 0xbbad, -v95
	v_mul_f16_e32 v103, 0xbbad, v60
	v_fmamk_f16 v110, v76, 0xb93d, v104
	v_add_f16_e32 v105, v108, v105
	v_fmamk_f16 v108, v76, 0x3abb, v112
	v_add_f16_e32 v113, v19, v113
	v_fmamk_f16 v115, v1, 0x3b47, v12
	v_mul_f16_e32 v60, 0xb08e, v60
	v_fmamk_f16 v101, v71, 0x3a0c, v99
	v_add_f16_e32 v82, v93, v82
	v_fmamk_f16 v93, v13, 0x3b47, v91
	v_add_f16_e32 v18, v0, v18
	v_fma_f16 v21, v67, 0xb08e, -v83
	v_fmac_f16_e32 v91, 0xbb47, v13
	v_add_f16_e32 v11, v23, v11
	v_fma_f16 v23, v17, 0x36a6, -v98
	v_mul_f16_e32 v107, 0xb08e, v32
	v_add_f16_e32 v94, v110, v94
	v_add_f16_e32 v105, v108, v105
	;; [unrolled: 1-line block ×3, first 2 shown]
	v_fmamk_f16 v110, v24, 0x3beb, v60
	v_mul_f16_e32 v32, 0xb93d, v32
	v_add_f16_e32 v79, v101, v79
	v_add_f16_e32 v93, v19, v93
	v_fmamk_f16 v101, v1, 0x3a0c, v102
	v_add_f16_e32 v18, v21, v18
	v_fma_f16 v21, v17, 0x3abb, -v86
	v_add_f16_e32 v26, v19, v91
	v_fmac_f16_e32 v102, 0xba0c, v1
	v_add_f16_e32 v11, v23, v11
	v_fma_f16 v23, v72, 0x3abb, -v100
	v_add_f16_e32 v108, v110, v108
	v_fmamk_f16 v110, v38, 0x3a0c, v32
	v_mul_f16_e32 v22, 0xbbad, v64
	v_add_f16_e32 v93, v101, v93
	v_fmamk_f16 v101, v24, 0xb482, v103
	v_add_f16_e32 v18, v21, v18
	v_fma_f16 v21, v72, 0xbbad, -v88
	v_add_f16_e32 v26, v102, v26
	v_fmac_f16_e32 v103, 0x3482, v24
	v_add_f16_e32 v11, v23, v11
	v_fma_f16 v23, v76, 0xb93d, -v104
	v_add_f16_e32 v65, v110, v108
	v_fmamk_f16 v15, v71, 0x3482, v22
	v_fmac_f16_e32 v74, 0xba0c, v13
	v_add_f16_e32 v93, v101, v93
	v_fmamk_f16 v101, v38, 0xbbeb, v107
	v_fmac_f16_e32 v89, 0xbbeb, v13
	v_add_f16_e32 v18, v21, v18
	v_fma_f16 v25, v76, 0x36a6, -v85
	v_add_f16_e32 v26, v103, v26
	v_fmac_f16_e32 v107, 0x3beb, v38
	v_add_f16_e32 v11, v23, v11
	v_fma_f16 v23, v62, 0x36a6, -v97
	v_fmac_f16_e32 v37, 0xb853, v13
	v_fma_f16 v13, v62, 0x3abb, -v61
	v_add_f16_e32 v14, v15, v65
	v_add_f16_e32 v15, v19, v74
	v_fmac_f16_e32 v75, 0x3beb, v1
	v_add_f16_e32 v21, v19, v89
	v_fmac_f16_e32 v81, 0x3482, v1
	v_add_f16_e32 v18, v25, v18
	v_add_f16_e32 v25, v107, v26
	;; [unrolled: 1-line block ×3, first 2 shown]
	v_fma_f16 v26, v67, 0xb93d, -v106
	v_add_f16_e32 v19, v19, v37
	v_fmac_f16_e32 v12, 0xbb47, v1
	v_add_f16_e32 v0, v0, v13
	v_fma_f16 v1, v67, 0x36a6, -v36
	v_add_f16_e32 v15, v75, v15
	v_fmac_f16_e32 v80, 0xb853, v24
	v_add_f16_e32 v21, v81, v21
	v_fmac_f16_e32 v92, 0x3b47, v24
	v_add_f16_e32 v13, v26, v23
	v_fma_f16 v23, v17, 0xbbad, -v109
	v_add_f16_e32 v12, v12, v19
	v_fmac_f16_e32 v60, 0xbbeb, v24
	v_add_f16_e32 v0, v1, v0
	v_fma_f16 v1, v17, 0xb08e, -v3
	v_add_f16_e32 v93, v101, v93
	v_mul_f16_e32 v101, 0x3abb, v64
	v_add_f16_e32 v15, v80, v15
	v_fmac_f16_e32 v84, 0xb482, v38
	v_add_f16_e32 v21, v92, v21
	v_fmac_f16_e32 v96, 0xb853, v38
	v_add_f16_e32 v3, v23, v13
	v_fma_f16 v13, v72, 0xb08e, -v111
	v_add_f16_e32 v12, v60, v12
	v_fmac_f16_e32 v32, 0xba0c, v38
	v_add_f16_e32 v0, v1, v0
	v_fma_f16 v1, v72, 0xb93d, -v30
	v_fmamk_f16 v114, v71, 0xb853, v101
	v_fmac_f16_e32 v69, 0xbbeb, v71
	v_add_f16_e32 v15, v84, v15
	v_fmac_f16_e32 v87, 0x3b47, v71
	v_add_f16_e32 v21, v96, v21
	v_fmac_f16_e32 v99, 0xba0c, v71
	v_fmac_f16_e32 v101, 0x3853, v71
	v_add_f16_e32 v3, v13, v3
	v_fma_f16 v13, v76, 0x3abb, -v112
	v_add_f16_e32 v12, v32, v12
	v_fmac_f16_e32 v22, 0xb482, v71
	v_add_f16_e32 v0, v1, v0
	v_fma_f16 v1, v76, 0xbbad, -v20
	v_add_f16_e32 v93, v114, v93
	v_pack_b32_f16 v2, v7, v2
	v_pack_b32_f16 v6, v6, v14
	v_add_f16_e32 v4, v69, v4
	v_add_f16_e32 v15, v87, v15
	;; [unrolled: 1-line block ×7, first 2 shown]
	ds_store_2addr_b32 v40, v2, v6 offset1:99
	v_pack_b32_f16 v1, v105, v93
	v_pack_b32_f16 v2, v94, v79
	v_add_nc_u32_e32 v6, 0x200, v40
	v_pack_b32_f16 v9, v82, v9
	v_pack_b32_f16 v8, v8, v10
	v_add_nc_u32_e32 v10, 0x400, v40
	;; [unrolled: 3-line block ×4, first 2 shown]
	v_pack_b32_f16 v0, v0, v12
	ds_store_2addr_b32 v6, v1, v2 offset0:70 offset1:169
	ds_store_2addr_b32 v10, v9, v8 offset0:140 offset1:239
	;; [unrolled: 1-line block ×4, first 2 shown]
	ds_store_b32 v40, v0 offset:3960
.LBB0_17:
	s_wait_alu 0xfffe
	s_or_b32 exec_lo, exec_lo, s0
	global_wb scope:SCOPE_SE
	s_wait_dscnt 0x0
	s_barrier_signal -1
	s_barrier_wait -1
	global_inv scope:SCOPE_SE
	ds_load_2addr_b32 v[4:5], v40 offset1:121
	v_mad_co_u64_u32 v[17:18], null, s4, v52, 0
	v_add_nc_u32_e32 v0, 0x200, v40
	v_add_nc_u32_e32 v2, 0xa00, v40
	s_mov_b32 s8, 0xa3611655
	s_mov_b32 s9, 0x3f4e1709
	ds_load_2addr_b32 v[0:1], v0 offset0:114 offset1:235
	ds_load_2addr_b32 v[2:3], v2 offset0:86 offset1:207
	s_wait_dscnt 0x2
	v_lshrrev_b32_e32 v6, 16, v4
	v_mul_f16_e32 v7, v59, v4
	s_delay_alu instid0(VALU_DEP_2) | instskip(NEXT) | instid1(VALU_DEP_2)
	v_mul_f16_e32 v8, v59, v6
	v_fma_f16 v6, v54, v6, -v7
	s_wait_dscnt 0x1
	v_lshrrev_b32_e32 v10, 16, v1
	v_mul_f16_e32 v9, v58, v1
	v_fmac_f16_e32 v8, v54, v4
	v_cvt_f32_f16_e32 v4, v6
	s_wait_dscnt 0x0
	v_lshrrev_b32_e32 v14, 16, v2
	v_mul_f16_e32 v12, v58, v10
	v_mul_f16_e32 v15, v57, v2
	v_cvt_f32_f16_e32 v8, v8
	v_cvt_f64_f32_e32 v[6:7], v4
	v_fma_f16 v4, v56, v10, -v9
	v_mul_f16_e32 v13, v57, v14
	v_fmac_f16_e32 v12, v56, v1
	v_cvt_f64_f32_e32 v[8:9], v8
	s_delay_alu instid0(VALU_DEP_4) | instskip(NEXT) | instid1(VALU_DEP_4)
	v_cvt_f32_f16_e32 v4, v4
	v_fmac_f16_e32 v13, v55, v2
	s_delay_alu instid0(VALU_DEP_4) | instskip(NEXT) | instid1(VALU_DEP_3)
	v_cvt_f32_f16_e32 v1, v12
	v_cvt_f64_f32_e32 v[10:11], v4
	s_delay_alu instid0(VALU_DEP_3) | instskip(NEXT) | instid1(VALU_DEP_3)
	v_cvt_f32_f16_e32 v4, v13
	v_cvt_f64_f32_e32 v[12:13], v1
	s_delay_alu instid0(VALU_DEP_2) | instskip(SKIP_2) | instid1(VALU_DEP_2)
	v_cvt_f64_f32_e32 v[1:2], v4
	v_fma_f16 v4, v55, v14, -v15
	v_mad_co_u64_u32 v[14:15], null, s6, v16, 0
	v_cvt_f32_f16_e32 v4, v4
	s_delay_alu instid0(VALU_DEP_1) | instskip(NEXT) | instid1(VALU_DEP_3)
	v_cvt_f64_f32_e32 v[19:20], v4
	v_dual_mov_b32 v4, v15 :: v_dual_mov_b32 v15, v18
	s_delay_alu instid0(VALU_DEP_1) | instskip(NEXT) | instid1(VALU_DEP_2)
	v_mad_co_u64_u32 v[21:22], null, s7, v16, v[4:5]
	v_mad_co_u64_u32 v[22:23], null, s5, v52, v[15:16]
	s_wait_alu 0xfffe
	v_mul_f64_e32 v[6:7], s[8:9], v[6:7]
	v_lshrrev_b32_e32 v4, 16, v5
	s_mul_u64 s[6:7], s[4:5], 0x5ac
	v_mul_f64_e32 v[8:9], s[8:9], v[8:9]
	s_delay_alu instid0(VALU_DEP_4) | instskip(NEXT) | instid1(VALU_DEP_3)
	v_dual_mov_b32 v15, v21 :: v_dual_mov_b32 v18, v22
	v_mul_f16_e32 v23, v53, v4
	s_delay_alu instid0(VALU_DEP_2) | instskip(SKIP_1) | instid1(VALU_DEP_4)
	v_lshlrev_b64_e32 v[14:15], 2, v[14:15]
	v_mul_f64_e32 v[10:11], s[8:9], v[10:11]
	v_lshlrev_b64_e32 v[16:17], 2, v[17:18]
	v_mul_f64_e32 v[12:13], s[8:9], v[12:13]
	v_fmac_f16_e32 v23, v50, v5
	v_mul_f16_e32 v5, v53, v5
	v_mul_f64_e32 v[21:22], s[8:9], v[1:2]
	v_add_co_u32 v1, vcc_lo, s2, v14
	s_wait_alu 0xfffd
	v_add_co_ci_u32_e32 v2, vcc_lo, s3, v15, vcc_lo
	v_cvt_f32_f16_e32 v18, v23
	s_delay_alu instid0(VALU_DEP_3) | instskip(SKIP_1) | instid1(VALU_DEP_3)
	v_add_co_u32 v14, vcc_lo, v1, v16
	s_wait_alu 0xfffd
	v_add_co_ci_u32_e32 v15, vcc_lo, v2, v17, vcc_lo
	s_delay_alu instid0(VALU_DEP_3) | instskip(SKIP_2) | instid1(VALU_DEP_1)
	v_cvt_f64_f32_e32 v[1:2], v18
	v_mul_f64_e32 v[16:17], s[8:9], v[19:20]
	v_fma_f16 v4, v50, v4, -v5
	v_cvt_f32_f16_e32 v4, v4
	v_and_or_b32 v6, 0x1ff, v7, v6
	v_lshrrev_b32_e32 v18, 8, v7
	v_bfe_u32 v19, v7, 20, 11
	v_lshrrev_b32_e32 v7, 16, v7
	v_and_or_b32 v8, 0x1ff, v9, v8
	v_cmp_ne_u32_e32 vcc_lo, 0, v6
	v_bfe_u32 v23, v9, 20, 11
	v_lshrrev_b32_e32 v20, 8, v9
	v_sub_nc_u32_e32 v24, 0x3f1, v19
	v_add_nc_u32_e32 v19, 0xfffffc10, v19
	s_wait_alu 0xfffd
	v_cndmask_b32_e64 v6, 0, 1, vcc_lo
	v_and_or_b32 v10, 0x1ff, v11, v10
	v_cmp_ne_u32_e32 vcc_lo, 0, v8
	v_bfe_u32 v26, v11, 20, 11
	v_sub_nc_u32_e32 v27, 0x3f1, v23
	v_add_nc_u32_e32 v23, 0xfffffc10, v23
	v_and_or_b32 v6, 0xffe, v18, v6
	s_wait_alu 0xfffd
	v_cndmask_b32_e64 v8, 0, 1, vcc_lo
	v_cmp_ne_u32_e32 vcc_lo, 0, v10
	v_and_or_b32 v12, 0x1ff, v13, v12
	v_lshrrev_b32_e32 v25, 8, v11
	v_med3_i32 v18, v24, 0, 13
	v_sub_nc_u32_e32 v29, 0x3f1, v26
	s_wait_alu 0xfffd
	v_cndmask_b32_e64 v10, 0, 1, vcc_lo
	v_cmp_ne_u32_e32 vcc_lo, 0, v6
	v_and_or_b32 v21, 0x1ff, v22, v21
	v_and_or_b32 v8, 0xffe, v20, v8
	v_med3_i32 v20, v27, 0, 13
	v_or_b32_e32 v27, 0x1000, v6
	v_lshl_or_b32 v32, v19, 12, v6
	s_wait_alu 0xfffd
	v_cndmask_b32_e64 v6, 0, 1, vcc_lo
	v_cmp_ne_u32_e32 vcc_lo, 0, v12
	v_bfe_u32 v28, v13, 20, 11
	v_and_or_b32 v10, 0xffe, v25, v10
	v_med3_i32 v25, v29, 0, 13
	v_or_b32_e32 v29, 0x1000, v8
	s_wait_alu 0xfffd
	v_cndmask_b32_e64 v12, 0, 1, vcc_lo
	v_cmp_ne_u32_e32 vcc_lo, 0, v21
	v_lshrrev_b32_e32 v35, v18, v27
	v_lshrrev_b32_e32 v24, 8, v13
	v_sub_nc_u32_e32 v33, 0x3f1, v28
	v_lshrrev_b32_e32 v37, v20, v29
	s_wait_alu 0xfffd
	v_cndmask_b32_e64 v21, 0, 1, vcc_lo
	v_cmp_ne_u32_e32 vcc_lo, 0, v8
	v_lshlrev_b32_e32 v18, v18, v35
	v_lshl_or_b32 v34, v23, 12, v8
	v_and_or_b32 v12, 0xffe, v24, v12
	v_med3_i32 v24, v33, 0, 13
	s_wait_alu 0xfffd
	v_cndmask_b32_e64 v8, 0, 1, vcc_lo
	v_or_b32_e32 v33, 0x1000, v10
	v_lshlrev_b32_e32 v20, v20, v37
	v_cmp_ne_u32_e32 vcc_lo, v18, v27
	v_add_nc_u32_e32 v28, 0xfffffc10, v28
	v_or_b32_e32 v38, 0x1000, v12
	v_lshrrev_b32_e32 v52, v25, v33
	v_lshl_or_b32 v8, v8, 9, 0x7c00
	s_wait_alu 0xfffd
	v_cndmask_b32_e64 v18, 0, 1, vcc_lo
	v_cmp_ne_u32_e32 vcc_lo, v20, v29
	v_lshl_or_b32 v39, v28, 12, v12
	v_lshrrev_b32_e32 v27, v24, v38
	v_cmp_gt_i32_e64 s3, 1, v28
	v_or_b32_e32 v18, v35, v18
	v_lshlrev_b32_e32 v25, v25, v52
	s_wait_alu 0xfffd
	v_cndmask_b32_e64 v20, 0, 1, vcc_lo
	v_cmp_ne_u32_e32 vcc_lo, 0, v12
	v_lshlrev_b32_e32 v24, v24, v27
	v_lshrrev_b32_e32 v9, 16, v9
	v_lshl_or_b32 v6, v6, 9, 0x7c00
	v_or_b32_e32 v20, v37, v20
	s_wait_alu 0xfffd
	v_cndmask_b32_e64 v12, 0, 1, vcc_lo
	v_cmp_ne_u32_e32 vcc_lo, v25, v33
	v_lshrrev_b32_e32 v30, 8, v22
	v_bfe_u32 v31, v22, 20, 11
	v_and_or_b32 v16, 0x1ff, v17, v16
	v_lshrrev_b32_e32 v11, 16, v11
	s_wait_alu 0xfffd
	v_cndmask_b32_e64 v25, 0, 1, vcc_lo
	v_cmp_gt_i32_e32 vcc_lo, 1, v19
	v_lshrrev_b32_e32 v22, 16, v22
	s_delay_alu instid0(VALU_DEP_3)
	v_or_b32_e32 v25, v52, v25
	s_wait_alu 0xfffd
	v_cndmask_b32_e32 v18, v32, v18, vcc_lo
	v_cmp_gt_i32_e32 vcc_lo, 1, v23
	v_add_nc_u32_e32 v26, 0xfffffc10, v26
	s_wait_alu 0xfffd
	s_delay_alu instid0(VALU_DEP_3) | instskip(SKIP_1) | instid1(VALU_DEP_3)
	v_dual_cndmask_b32 v20, v34, v20 :: v_dual_and_b32 v29, 7, v18
	v_cmp_ne_u32_e32 vcc_lo, v24, v38
	v_lshl_or_b32 v36, v26, 12, v10
	v_lshrrev_b32_e32 v18, 2, v18
	s_delay_alu instid0(VALU_DEP_4)
	v_cmp_lt_i32_e64 s1, 5, v29
	v_and_b32_e32 v32, 7, v20
	s_wait_alu 0xfffd
	v_cndmask_b32_e64 v24, 0, 1, vcc_lo
	v_cmp_gt_i32_e32 vcc_lo, 1, v26
	v_lshrrev_b32_e32 v20, 2, v20
	v_cmp_eq_u32_e64 s2, 3, v29
	v_cmp_eq_u32_e64 s0, 3, v32
	v_or_b32_e32 v24, v27, v24
	s_wait_alu 0xfffd
	v_cndmask_b32_e32 v25, v36, v25, vcc_lo
	v_cmp_lt_i32_e32 vcc_lo, 5, v32
	s_wait_alu 0xf1ff
	v_cndmask_b32_e64 v24, v39, v24, s3
	s_or_b32 vcc_lo, s0, vcc_lo
	v_cmp_eq_u32_e64 s0, 0x40f, v23
	s_wait_alu 0xfffe
	v_add_co_ci_u32_e32 v20, vcc_lo, 0, v20, vcc_lo
	s_or_b32 vcc_lo, s2, s1
	v_cmp_eq_u32_e64 s1, 0x40f, v19
	s_wait_alu 0xfffe
	v_add_co_ci_u32_e32 v18, vcc_lo, 0, v18, vcc_lo
	v_cmp_gt_i32_e32 vcc_lo, 31, v23
	s_wait_alu 0xfffd
	v_cndmask_b32_e32 v20, 0x7c00, v20, vcc_lo
	v_cmp_gt_i32_e32 vcc_lo, 31, v19
	v_and_b32_e32 v27, 7, v24
	v_and_or_b32 v19, 0xffe, v30, v21
	s_delay_alu instid0(VALU_DEP_4)
	v_cndmask_b32_e64 v8, v20, v8, s0
	s_wait_alu 0xfffd
	v_cndmask_b32_e32 v18, 0x7c00, v18, vcc_lo
	v_cmp_lt_i32_e32 vcc_lo, 5, v27
	v_cmp_eq_u32_e64 s0, 3, v27
	v_lshrrev_b32_e32 v20, 2, v24
	v_and_or_b32 v8, 0x8000, v9, v8
	s_wait_alu 0xf1ff
	v_cndmask_b32_e64 v6, v18, v6, s1
	s_or_b32 vcc_lo, s0, vcc_lo
	s_wait_alu 0xfffe
	v_add_co_ci_u32_e32 v9, vcc_lo, 0, v20, vcc_lo
	v_cmp_gt_i32_e32 vcc_lo, 31, v28
	v_and_or_b32 v6, 0x8000, v7, v6
	v_and_b32_e32 v7, 0xffff, v8
	v_lshl_or_b32 v8, v12, 9, 0x7c00
	v_and_b32_e32 v12, 7, v25
	s_wait_alu 0xfffd
	v_cndmask_b32_e32 v9, 0x7c00, v9, vcc_lo
	v_cmp_eq_u32_e32 vcc_lo, 0x40f, v28
	v_lshl_or_b32 v18, v6, 16, v7
	v_sub_nc_u32_e32 v6, 0x3f1, v31
	v_cmp_eq_u32_e64 s0, 3, v12
	v_or_b32_e32 v7, 0x1000, v19
	s_wait_alu 0xfffd
	v_cndmask_b32_e32 v8, v9, v8, vcc_lo
	v_cmp_lt_i32_e32 vcc_lo, 5, v12
	v_lshrrev_b32_e32 v12, 2, v25
	v_med3_i32 v6, v6, 0, 13
	v_lshrrev_b32_e32 v9, 16, v13
	v_add_nc_u32_e32 v20, 0xfffffc10, v31
	s_or_b32 vcc_lo, s0, vcc_lo
	global_store_b32 v[14:15], v18, off
	s_wait_alu 0xfffe
	v_add_co_ci_u32_e32 v5, vcc_lo, 0, v12, vcc_lo
	v_cmp_ne_u32_e32 vcc_lo, 0, v10
	v_lshrrev_b32_e32 v13, v6, v7
	s_wait_alu 0xfffd
	v_cndmask_b32_e64 v10, 0, 1, vcc_lo
	v_cmp_gt_i32_e32 vcc_lo, 31, v26
	s_delay_alu instid0(VALU_DEP_3) | instskip(NEXT) | instid1(VALU_DEP_3)
	v_lshlrev_b32_e32 v6, v6, v13
	v_lshl_or_b32 v10, v10, 9, 0x7c00
	s_wait_alu 0xfffd
	v_cndmask_b32_e32 v12, 0x7c00, v5, vcc_lo
	v_cvt_f64_f32_e32 v[4:5], v4
	v_cmp_ne_u32_e32 vcc_lo, v6, v7
	s_wait_alu 0xfffd
	v_cndmask_b32_e64 v6, 0, 1, vcc_lo
	v_cmp_eq_u32_e32 vcc_lo, 0x40f, v26
	s_wait_alu 0xfffd
	v_cndmask_b32_e32 v10, v12, v10, vcc_lo
	v_cmp_ne_u32_e32 vcc_lo, 0, v16
	v_or_b32_e32 v12, v13, v6
	v_mul_f64_e32 v[6:7], s[8:9], v[1:2]
	v_lshl_or_b32 v1, v20, 12, v19
	v_lshrrev_b32_e32 v13, 8, v17
	s_wait_alu 0xfffd
	v_cndmask_b32_e64 v2, 0, 1, vcc_lo
	v_bfe_u32 v16, v17, 20, 11
	v_cmp_gt_i32_e32 vcc_lo, 1, v20
	v_lshrrev_b32_e32 v17, 16, v17
	s_delay_alu instid0(VALU_DEP_4)
	v_and_or_b32 v13, 0xffe, v13, v2
	v_and_or_b32 v2, 0x8000, v9, v8
	s_wait_alu 0xfffd
	v_cndmask_b32_e32 v12, v1, v12, vcc_lo
	v_sub_nc_u32_e32 v1, 0x3f1, v16
	v_and_or_b32 v8, 0x8000, v11, v10
	v_or_b32_e32 v10, 0x1000, v13
	v_and_b32_e32 v21, 0xffff, v2
	v_and_b32_e32 v9, 7, v12
	v_med3_i32 v11, v1, 0, 13
	v_lshrrev_b32_e32 v12, 2, v12
	s_delay_alu instid0(VALU_DEP_4) | instskip(NEXT) | instid1(VALU_DEP_4)
	v_lshl_or_b32 v18, v8, 16, v21
	v_cmp_lt_i32_e32 vcc_lo, 5, v9
	v_cmp_eq_u32_e64 s0, 3, v9
	v_lshrrev_b32_e32 v9, v11, v10
	v_mul_f64_e32 v[4:5], s[8:9], v[4:5]
	s_delay_alu instid0(VALU_DEP_3) | instskip(NEXT) | instid1(VALU_DEP_2)
	s_or_b32 vcc_lo, s0, vcc_lo
	v_lshlrev_b32_e32 v8, v11, v9
	s_wait_alu 0xfffe
	v_add_co_ci_u32_e32 v11, vcc_lo, 0, v12, vcc_lo
	v_add_nc_u32_e32 v12, 0xfffffc10, v16
	s_delay_alu instid0(VALU_DEP_3)
	v_cmp_ne_u32_e32 vcc_lo, v8, v10
	s_wait_alu 0xfffd
	v_cndmask_b32_e64 v8, 0, 1, vcc_lo
	v_cmp_gt_i32_e32 vcc_lo, 31, v20
	v_and_or_b32 v6, 0x1ff, v7, v6
	v_bfe_u32 v21, v7, 20, 11
	s_delay_alu instid0(VALU_DEP_4)
	v_or_b32_e32 v8, v9, v8
	s_wait_alu 0xfffd
	v_cndmask_b32_e32 v10, 0x7c00, v11, vcc_lo
	v_cmp_ne_u32_e32 vcc_lo, 0, v19
	v_lshl_or_b32 v9, v12, 12, v13
	s_wait_alu 0xfffd
	v_cndmask_b32_e64 v11, 0, 1, vcc_lo
	v_cmp_gt_i32_e32 vcc_lo, 1, v12
	s_delay_alu instid0(VALU_DEP_2)
	v_lshl_or_b32 v11, v11, 9, 0x7c00
	v_bfe_u32 v25, v5, 20, 11
	s_wait_alu 0xfffd
	v_cndmask_b32_e32 v8, v9, v8, vcc_lo
	v_cmp_ne_u32_e32 vcc_lo, 0, v6
	v_lshrrev_b32_e32 v9, 8, v7
	v_and_or_b32 v4, 0x1ff, v5, v4
	v_lshrrev_b32_e32 v24, 8, v5
	v_and_b32_e32 v23, 7, v8
	s_wait_alu 0xfffd
	v_cndmask_b32_e64 v6, 0, 1, vcc_lo
	v_cmp_eq_u32_e32 vcc_lo, 0x40f, v20
	v_add_nc_u32_e32 v1, 0x600, v40
	v_lshrrev_b32_e32 v5, 16, v5
	v_cmp_eq_u32_e64 s0, 3, v23
	v_and_or_b32 v6, 0xffe, v9, v6
	s_wait_alu 0xfffd
	v_cndmask_b32_e32 v20, v10, v11, vcc_lo
	ds_load_2addr_b32 v[1:2], v1 offset0:100 offset1:221
	v_sub_nc_u32_e32 v9, 0x3f1, v21
	v_cmp_lt_i32_e32 vcc_lo, 5, v23
	v_lshrrev_b32_e32 v23, 2, v8
	v_or_b32_e32 v11, 0x1000, v6
	s_or_b32 vcc_lo, s0, vcc_lo
	s_wait_alu 0xfffe
	s_delay_alu instid0(VALU_DEP_2)
	v_add_co_ci_u32_e32 v23, vcc_lo, 0, v23, vcc_lo
	v_cmp_ne_u32_e32 vcc_lo, 0, v13
	s_wait_alu 0xfffd
	v_cndmask_b32_e64 v13, 0, 1, vcc_lo
	v_cmp_ne_u32_e32 vcc_lo, 0, v4
	s_wait_dscnt 0x0
	v_lshrrev_b32_e32 v16, 16, v1
	s_delay_alu instid0(VALU_DEP_3) | instskip(SKIP_2) | instid1(VALU_DEP_3)
	v_lshl_or_b32 v13, v13, 9, 0x7c00
	s_wait_alu 0xfffd
	v_cndmask_b32_e64 v4, 0, 1, vcc_lo
	v_mul_f16_e32 v19, v51, v16
	s_delay_alu instid0(VALU_DEP_2) | instskip(NEXT) | instid1(VALU_DEP_2)
	v_and_or_b32 v4, 0xffe, v24, v4
	v_fmac_f16_e32 v19, v48, v1
	v_mul_f16_e32 v1, v51, v1
	s_delay_alu instid0(VALU_DEP_3) | instskip(NEXT) | instid1(VALU_DEP_3)
	v_or_b32_e32 v26, 0x1000, v4
	v_cvt_f32_f16_e32 v10, v19
	v_med3_i32 v19, v9, 0, 13
	s_delay_alu instid0(VALU_DEP_4) | instskip(SKIP_1) | instid1(VALU_DEP_4)
	v_fma_f16 v1, v48, v16, -v1
	v_add_nc_u32_e32 v16, 0xfffffc10, v21
	v_cvt_f64_f32_e32 v[8:9], v10
	s_delay_alu instid0(VALU_DEP_4) | instskip(NEXT) | instid1(VALU_DEP_4)
	v_lshrrev_b32_e32 v10, v19, v11
	v_cvt_f32_f16_e32 v1, v1
	s_delay_alu instid0(VALU_DEP_4) | instskip(NEXT) | instid1(VALU_DEP_3)
	v_lshl_or_b32 v24, v16, 12, v6
	v_lshlrev_b32_e32 v19, v19, v10
	s_delay_alu instid0(VALU_DEP_1) | instskip(SKIP_3) | instid1(VALU_DEP_2)
	v_cmp_ne_u32_e32 vcc_lo, v19, v11
	v_sub_nc_u32_e32 v19, 0x3f1, v25
	s_wait_alu 0xfffd
	v_cndmask_b32_e64 v11, 0, 1, vcc_lo
	v_med3_i32 v19, v19, 0, 13
	v_cmp_gt_i32_e32 vcc_lo, 31, v12
	s_delay_alu instid0(VALU_DEP_3)
	v_or_b32_e32 v21, v10, v11
	v_cvt_f64_f32_e32 v[10:11], v1
	s_wait_alu 0xfffd
	v_cndmask_b32_e32 v1, 0x7c00, v23, vcc_lo
	v_cmp_gt_i32_e32 vcc_lo, 1, v16
	v_lshrrev_b32_e32 v23, v19, v26
	s_wait_alu 0xfffd
	v_cndmask_b32_e32 v21, v24, v21, vcc_lo
	s_delay_alu instid0(VALU_DEP_2) | instskip(SKIP_1) | instid1(VALU_DEP_3)
	v_lshlrev_b32_e32 v19, v19, v23
	v_cmp_eq_u32_e32 vcc_lo, 0x40f, v12
	v_and_b32_e32 v24, 7, v21
	s_delay_alu instid0(VALU_DEP_3)
	v_cmp_ne_u32_e64 s0, v19, v26
	s_wait_alu 0xfffd
	v_cndmask_b32_e32 v1, v1, v13, vcc_lo
	v_add_co_u32 v12, vcc_lo, v14, s6
	v_mul_f64_e32 v[8:9], s[8:9], v[8:9]
	s_wait_alu 0xfffd
	v_add_co_ci_u32_e32 v13, vcc_lo, s7, v15, vcc_lo
	v_cmp_lt_i32_e32 vcc_lo, 5, v24
	s_wait_alu 0xf1ff
	v_cndmask_b32_e64 v15, 0, 1, s0
	v_cmp_eq_u32_e64 s0, 3, v24
	v_lshrrev_b32_e32 v19, 2, v21
	v_and_or_b32 v1, 0x8000, v17, v1
	v_add_nc_u32_e32 v17, 0xfffffc10, v25
	v_and_or_b32 v14, 0x8000, v22, v20
	s_or_b32 vcc_lo, s0, vcc_lo
	v_or_b32_e32 v15, v23, v15
	s_wait_alu 0xfffe
	v_add_co_ci_u32_e32 v19, vcc_lo, 0, v19, vcc_lo
	v_cmp_ne_u32_e32 vcc_lo, 0, v6
	v_lshl_or_b32 v20, v17, 12, v4
	v_and_b32_e32 v14, 0xffff, v14
	s_wait_alu 0xfffd
	v_cndmask_b32_e64 v6, 0, 1, vcc_lo
	v_cmp_gt_i32_e32 vcc_lo, 1, v17
	v_mul_f64_e32 v[10:11], s[8:9], v[10:11]
	v_lshl_or_b32 v1, v1, 16, v14
	s_delay_alu instid0(VALU_DEP_4)
	v_lshl_or_b32 v6, v6, 9, 0x7c00
	s_wait_alu 0xfffd
	v_cndmask_b32_e32 v15, v20, v15, vcc_lo
	v_cmp_gt_i32_e32 vcc_lo, 31, v16
	v_lshrrev_b32_e32 v20, 16, v3
	s_wait_alu 0xfffd
	v_cndmask_b32_e32 v19, 0x7c00, v19, vcc_lo
	v_cmp_eq_u32_e32 vcc_lo, 0x40f, v16
	s_wait_alu 0xfffd
	s_delay_alu instid0(VALU_DEP_2) | instskip(NEXT) | instid1(VALU_DEP_1)
	v_dual_cndmask_b32 v16, v19, v6 :: v_dual_and_b32 v21, 7, v15
	v_cmp_lt_i32_e32 vcc_lo, 5, v21
	v_cmp_eq_u32_e64 s0, 3, v21
	v_lshrrev_b32_e32 v19, 16, v7
	v_lshrrev_b32_e32 v7, 2, v15
	v_and_or_b32 v8, 0x1ff, v9, v8
	v_mul_f16_e32 v6, v49, v20
	s_or_b32 vcc_lo, s0, vcc_lo
	v_lshrrev_b32_e32 v15, 8, v9
	s_wait_alu 0xfffe
	v_add_co_ci_u32_e32 v14, vcc_lo, 0, v7, vcc_lo
	v_cmp_ne_u32_e32 vcc_lo, 0, v8
	v_fmac_f16_e32 v6, v47, v3
	v_bfe_u32 v21, v9, 20, 11
	v_mul_f16_e32 v3, v49, v3
	v_and_or_b32 v16, 0x8000, v19, v16
	s_wait_alu 0xfffd
	v_cndmask_b32_e64 v8, 0, 1, vcc_lo
	v_cvt_f32_f16_e32 v6, v6
	v_cmp_ne_u32_e32 vcc_lo, 0, v4
	v_fma_f16 v3, v47, v20, -v3
	s_mul_i32 s0, s5, 0xfffff68c
	v_and_or_b32 v22, 0xffe, v15, v8
	v_sub_nc_u32_e32 v8, 0x3f1, v21
	v_cvt_f64_f32_e32 v[6:7], v6
	s_wait_alu 0xfffd
	v_cndmask_b32_e64 v4, 0, 1, vcc_lo
	v_cmp_gt_i32_e32 vcc_lo, 31, v17
	v_or_b32_e32 v20, 0x1000, v22
	v_med3_i32 v8, v8, 0, 13
	v_and_or_b32 v10, 0x1ff, v11, v10
	v_lshl_or_b32 v4, v4, 9, 0x7c00
	v_cvt_f32_f16_e32 v3, v3
	v_bfe_u32 v19, v11, 20, 11
	v_lshrrev_b32_e32 v23, v8, v20
	s_wait_alu 0xfffd
	v_cndmask_b32_e32 v14, 0x7c00, v14, vcc_lo
	v_cmp_eq_u32_e32 vcc_lo, 0x40f, v17
	s_wait_alu 0xfffe
	s_sub_co_i32 s3, s0, s4
	v_and_b32_e32 v16, 0xffff, v16
	s_wait_alu 0xfffd
	v_cndmask_b32_e32 v17, v14, v4, vcc_lo
	v_add_co_u32 v14, vcc_lo, v12, s6
	s_wait_alu 0xfffd
	v_add_co_ci_u32_e32 v15, vcc_lo, s7, v13, vcc_lo
	s_delay_alu instid0(VALU_DEP_3)
	v_and_or_b32 v17, 0x8000, v5, v17
	v_lshlrev_b32_e32 v5, v8, v23
	v_cmp_ne_u32_e32 vcc_lo, 0, v10
	v_cvt_f64_f32_e32 v[3:4], v3
	v_lshrrev_b32_e32 v10, 8, v11
	s_clause 0x1
	global_store_b32 v[12:13], v18, off
	global_store_b32 v[14:15], v1, off
	v_lshl_or_b32 v12, v17, 16, v16
	s_wait_alu 0xfffd
	v_cndmask_b32_e64 v8, 0, 1, vcc_lo
	v_cmp_ne_u32_e32 vcc_lo, v5, v20
	v_add_nc_u32_e32 v20, 0xfffffc10, v21
	v_lshrrev_b32_e32 v18, 16, v9
	v_lshrrev_b32_e32 v11, 16, v11
	v_and_or_b32 v21, 0xffe, v10, v8
	s_wait_alu 0xfffd
	v_cndmask_b32_e64 v5, 0, 1, vcc_lo
	v_sub_nc_u32_e32 v8, 0x3f1, v19
	v_cmp_gt_i32_e32 vcc_lo, 1, v20
	v_or_b32_e32 v24, 0x1000, v21
	s_delay_alu instid0(VALU_DEP_4)
	v_or_b32_e32 v10, v23, v5
	v_lshl_or_b32 v23, v20, 12, v22
	v_med3_i32 v25, v8, 0, 13
	v_mul_f64_e32 v[5:6], s[8:9], v[6:7]
	v_mad_co_u64_u32 v[7:8], null, 0xfffff68c, s4, v[14:15]
	s_wait_alu 0xfffd
	v_cndmask_b32_e32 v10, v23, v10, vcc_lo
	v_lshrrev_b32_e32 v1, v25, v24
	v_lshrrev_b32_e32 v15, 16, v0
	s_delay_alu instid0(VALU_DEP_3) | instskip(NEXT) | instid1(VALU_DEP_3)
	v_and_b32_e32 v13, 7, v10
	v_lshlrev_b32_e32 v14, v25, v1
	v_lshrrev_b32_e32 v10, 2, v10
	s_delay_alu instid0(VALU_DEP_4)
	v_mul_f16_e32 v16, v46, v15
	s_wait_alu 0xfffe
	v_add_nc_u32_e32 v8, s3, v8
	v_cmp_lt_i32_e32 vcc_lo, 5, v13
	v_cmp_eq_u32_e64 s0, 3, v13
	v_cmp_ne_u32_e64 s1, v14, v24
	v_add_nc_u32_e32 v14, 0xfffffc10, v19
	v_fmac_f16_e32 v16, v45, v0
	v_mul_f16_e32 v0, v46, v0
	s_or_b32 vcc_lo, s0, vcc_lo
	v_cndmask_b32_e64 v13, 0, 1, s1
	s_wait_alu 0xfffe
	v_add_co_ci_u32_e32 v10, vcc_lo, 0, v10, vcc_lo
	v_cmp_ne_u32_e32 vcc_lo, 0, v22
	v_mul_f64_e32 v[3:4], s[8:9], v[3:4]
	v_or_b32_e32 v1, v1, v13
	v_lshl_or_b32 v13, v14, 12, v21
	v_cvt_f32_f16_e32 v16, v16
	s_wait_alu 0xfffd
	v_cndmask_b32_e64 v17, 0, 1, vcc_lo
	v_cmp_gt_i32_e32 vcc_lo, 1, v14
	v_fma_f16 v0, v45, v15, -v0
	global_store_b32 v[7:8], v12, off
	s_wait_alu 0xfffd
	v_cndmask_b32_e32 v1, v13, v1, vcc_lo
	v_cmp_gt_i32_e32 vcc_lo, 31, v20
	v_lshl_or_b32 v13, v17, 9, 0x7c00
	v_and_or_b32 v5, 0x1ff, v6, v5
	s_wait_alu 0xfffd
	v_dual_cndmask_b32 v10, 0x7c00, v10 :: v_dual_and_b32 v17, 7, v1
	v_cmp_eq_u32_e32 vcc_lo, 0x40f, v20
	v_lshrrev_b32_e32 v1, 2, v1
	v_cmp_ne_u32_e64 s0, 0, v5
	v_bfe_u32 v19, v6, 20, 11
	s_wait_alu 0xfffd
	v_cndmask_b32_e32 v13, v10, v13, vcc_lo
	v_cvt_f64_f32_e32 v[9:10], v16
	v_cmp_lt_i32_e32 vcc_lo, 5, v17
	s_wait_alu 0xf1ff
	v_cndmask_b32_e64 v5, 0, 1, s0
	v_cmp_eq_u32_e64 s0, 3, v17
	v_lshrrev_b32_e32 v16, 8, v6
	v_and_or_b32 v13, 0x8000, v18, v13
	s_delay_alu instid0(VALU_DEP_3) | instskip(NEXT) | instid1(VALU_DEP_2)
	s_or_b32 vcc_lo, s0, vcc_lo
	v_and_or_b32 v5, 0xffe, v16, v5
	s_wait_alu 0xfffe
	v_add_co_ci_u32_e32 v1, vcc_lo, 0, v1, vcc_lo
	v_cmp_gt_i32_e32 vcc_lo, 31, v14
	v_sub_nc_u32_e32 v16, 0x3f1, v19
	v_or_b32_e32 v17, 0x1000, v5
	v_and_or_b32 v3, 0x1ff, v4, v3
	v_bfe_u32 v22, v4, 20, 11
	s_wait_alu 0xfffd
	v_cndmask_b32_e32 v18, 0x7c00, v1, vcc_lo
	v_cmp_ne_u32_e32 vcc_lo, 0, v21
	v_med3_i32 v16, v16, 0, 13
	v_lshrrev_b32_e32 v21, 8, v4
	v_and_b32_e32 v13, 0xffff, v13
	v_lshrrev_b32_e32 v4, 16, v4
	s_wait_alu 0xfffd
	v_cndmask_b32_e64 v1, 0, 1, vcc_lo
	v_cmp_ne_u32_e32 vcc_lo, 0, v3
	v_lshrrev_b32_e32 v20, v16, v17
	s_delay_alu instid0(VALU_DEP_3) | instskip(SKIP_2) | instid1(VALU_DEP_3)
	v_lshl_or_b32 v23, v1, 9, 0x7c00
	s_wait_alu 0xfffd
	v_cndmask_b32_e64 v3, 0, 1, vcc_lo
	v_lshlrev_b32_e32 v16, v16, v20
	v_sub_nc_u32_e32 v1, 0x3f1, v22
	s_delay_alu instid0(VALU_DEP_3) | instskip(NEXT) | instid1(VALU_DEP_3)
	v_and_or_b32 v3, 0xffe, v21, v3
	v_cmp_ne_u32_e32 vcc_lo, v16, v17
	v_add_nc_u32_e32 v16, 0xfffffc10, v19
	s_delay_alu instid0(VALU_DEP_4)
	v_med3_i32 v19, v1, 0, 13
	v_cvt_f32_f16_e32 v21, v0
	v_mul_f64_e32 v[0:1], s[8:9], v[9:10]
	v_or_b32_e32 v17, 0x1000, v3
	s_wait_alu 0xfffd
	v_cndmask_b32_e64 v15, 0, 1, vcc_lo
	v_cmp_eq_u32_e32 vcc_lo, 0x40f, v14
	v_cvt_f64_f32_e32 v[9:10], v21
	v_lshrrev_b32_e32 v24, v19, v17
	s_delay_alu instid0(VALU_DEP_4)
	v_or_b32_e32 v15, v20, v15
	v_lshl_or_b32 v20, v16, 12, v5
	s_wait_alu 0xfffd
	v_cndmask_b32_e32 v14, v18, v23, vcc_lo
	v_cmp_gt_i32_e32 vcc_lo, 1, v16
	v_lshlrev_b32_e32 v18, v19, v24
	s_delay_alu instid0(VALU_DEP_3) | instskip(SKIP_2) | instid1(VALU_DEP_3)
	v_and_or_b32 v11, 0x8000, v11, v14
	s_wait_alu 0xfffd
	v_cndmask_b32_e32 v15, v20, v15, vcc_lo
	v_cmp_ne_u32_e32 vcc_lo, v18, v17
	v_add_nc_u32_e32 v18, 0xfffffc10, v22
	v_lshl_or_b32 v19, v11, 16, v13
	s_delay_alu instid0(VALU_DEP_4)
	v_and_b32_e32 v14, 7, v15
	s_wait_alu 0xfffd
	v_cndmask_b32_e64 v17, 0, 1, vcc_lo
	v_lshl_or_b32 v12, v18, 12, v3
	v_lshrrev_b32_e32 v13, 16, v2
	v_cmp_gt_i32_e64 s1, 1, v18
	v_cmp_lt_i32_e32 vcc_lo, 5, v14
	v_or_b32_e32 v11, v24, v17
	v_cmp_eq_u32_e64 s0, 3, v14
	v_lshrrev_b32_e32 v14, 2, v15
	s_wait_alu 0xf1ff
	s_delay_alu instid0(VALU_DEP_3)
	v_cndmask_b32_e64 v15, v12, v11, s1
	v_mul_f16_e32 v11, v44, v13
	s_or_b32 vcc_lo, s0, vcc_lo
	s_wait_alu 0xfffe
	v_add_co_ci_u32_e32 v12, vcc_lo, 0, v14, vcc_lo
	v_cmp_ne_u32_e32 vcc_lo, 0, v5
	v_and_or_b32 v0, 0x1ff, v1, v0
	v_fmac_f16_e32 v11, v43, v2
	v_and_b32_e32 v14, 7, v15
	v_bfe_u32 v20, v1, 20, 11
	s_wait_alu 0xfffd
	v_cndmask_b32_e64 v5, 0, 1, vcc_lo
	v_cmp_gt_i32_e32 vcc_lo, 31, v16
	v_cmp_ne_u32_e64 s1, 0, v0
	v_cvt_f32_f16_e32 v11, v11
	v_mul_f64_e32 v[9:10], s[8:9], v[9:10]
	v_lshl_or_b32 v5, v5, 9, 0x7c00
	s_wait_alu 0xfffd
	v_cndmask_b32_e32 v17, 0x7c00, v12, vcc_lo
	s_wait_alu 0xf1ff
	v_cndmask_b32_e64 v0, 0, 1, s1
	v_cmp_eq_u32_e64 s1, 0x40f, v16
	v_cvt_f64_f32_e32 v[11:12], v11
	v_cmp_lt_i32_e32 vcc_lo, 5, v14
	v_cmp_eq_u32_e64 s0, 3, v14
	v_lshrrev_b32_e32 v14, 8, v1
	s_wait_alu 0xf1ff
	v_cndmask_b32_e64 v16, v17, v5, s1
	v_lshrrev_b32_e32 v5, 2, v15
	v_lshrrev_b32_e32 v17, 16, v6
	s_or_b32 vcc_lo, s0, vcc_lo
	v_and_or_b32 v0, 0xffe, v14, v0
	v_sub_nc_u32_e32 v14, 0x3f1, v20
	s_wait_alu 0xfffe
	v_add_co_ci_u32_e32 v5, vcc_lo, 0, v5, vcc_lo
	v_cmp_ne_u32_e32 vcc_lo, 0, v3
	v_or_b32_e32 v15, 0x1000, v0
	v_med3_i32 v14, v14, 0, 13
	v_mul_f16_e32 v2, v44, v2
	v_and_or_b32 v16, 0x8000, v17, v16
	s_wait_alu 0xfffd
	v_cndmask_b32_e64 v3, 0, 1, vcc_lo
	v_cmp_gt_i32_e32 vcc_lo, 31, v18
	v_lshrrev_b32_e32 v22, v14, v15
	v_add_nc_u32_e32 v17, 0xfffffc10, v20
	s_delay_alu instid0(VALU_DEP_4)
	v_lshl_or_b32 v3, v3, 9, 0x7c00
	s_wait_alu 0xfffd
	v_cndmask_b32_e32 v21, 0x7c00, v5, vcc_lo
	v_add_co_u32 v5, vcc_lo, v7, s6
	s_wait_alu 0xfffd
	v_add_co_ci_u32_e32 v6, vcc_lo, s7, v8, vcc_lo
	v_cmp_eq_u32_e32 vcc_lo, 0x40f, v18
	s_wait_alu 0xfffd
	v_dual_cndmask_b32 v14, v21, v3 :: v_dual_lshlrev_b32 v7, v14, v22
	s_delay_alu instid0(VALU_DEP_1)
	v_cmp_ne_u32_e32 vcc_lo, v7, v15
	v_fma_f16 v7, v43, v13, -v2
	v_and_or_b32 v8, 0x1ff, v10, v9
	ds_load_b32 v13, v40 offset:3872
	v_bfe_u32 v18, v10, 20, 11
	s_wait_alu 0xfffd
	v_cndmask_b32_e64 v3, 0, 1, vcc_lo
	v_cvt_f32_f16_e32 v7, v7
	v_cmp_ne_u32_e32 vcc_lo, 0, v8
	v_lshl_or_b32 v15, v17, 12, v0
	v_and_or_b32 v4, 0x8000, v4, v14
	v_or_b32_e32 v9, v22, v3
	v_mul_f64_e32 v[2:3], s[8:9], v[11:12]
	s_wait_alu 0xfffd
	v_cndmask_b32_e64 v11, 0, 1, vcc_lo
	v_lshrrev_b32_e32 v12, 8, v10
	v_cmp_gt_i32_e32 vcc_lo, 1, v17
	v_cvt_f64_f32_e32 v[7:8], v7
	v_lshrrev_b32_e32 v10, 16, v10
	s_delay_alu instid0(VALU_DEP_4)
	v_and_or_b32 v20, 0xffe, v12, v11
	v_sub_nc_u32_e32 v11, 0x3f1, v18
	s_wait_alu 0xfffd
	v_dual_cndmask_b32 v9, v15, v9 :: v_dual_and_b32 v12, 0xffff, v16
	v_add_nc_u32_e32 v18, 0xfffffc10, v18
	v_or_b32_e32 v15, 0x1000, v20
	v_med3_i32 v16, v11, 0, 13
	s_delay_alu instid0(VALU_DEP_4)
	v_and_b32_e32 v14, 7, v9
	s_wait_dscnt 0x0
	v_lshrrev_b32_e32 v21, 16, v13
	v_lshrrev_b32_e32 v9, 2, v9
	v_add_co_u32 v11, s1, v5, s6
	v_lshrrev_b32_e32 v22, v16, v15
	v_cmp_lt_i32_e32 vcc_lo, 5, v14
	v_cmp_eq_u32_e64 s0, 3, v14
	v_mul_f16_e32 v14, v42, v21
	v_lshl_or_b32 v4, v4, 16, v12
	v_lshlrev_b32_e32 v16, v16, v22
	s_wait_alu 0xf1ff
	v_add_co_ci_u32_e64 v12, s1, s7, v6, s1
	s_or_b32 vcc_lo, s0, vcc_lo
	v_fmac_f16_e32 v14, v41, v13
	s_wait_alu 0xfffe
	v_add_co_ci_u32_e32 v9, vcc_lo, 0, v9, vcc_lo
	v_cmp_ne_u32_e32 vcc_lo, v16, v15
	v_mul_f16_e32 v13, v42, v13
	v_cvt_f32_f16_e32 v14, v14
	v_cmp_eq_u32_e64 s1, 0x40f, v17
	s_wait_alu 0xfffd
	v_cndmask_b32_e64 v15, 0, 1, vcc_lo
	v_fma_f16 v16, v41, v21, -v13
	v_and_or_b32 v2, 0x1ff, v3, v2
	v_cvt_f64_f32_e32 v[13:14], v14
	v_lshrrev_b32_e32 v23, 8, v3
	v_or_b32_e32 v21, v22, v15
	v_lshl_or_b32 v22, v18, 12, v20
	v_cmp_ne_u32_e32 vcc_lo, 0, v2
	v_cvt_f32_f16_e32 v15, v16
	v_bfe_u32 v24, v3, 20, 11
	v_mul_f64_e32 v[7:8], s[8:9], v[7:8]
	v_lshrrev_b32_e32 v3, 16, v3
	s_wait_alu 0xfffd
	v_cndmask_b32_e64 v2, 0, 1, vcc_lo
	v_cmp_gt_i32_e32 vcc_lo, 1, v18
	v_cvt_f64_f32_e32 v[15:16], v15
	s_delay_alu instid0(VALU_DEP_3)
	v_and_or_b32 v2, 0xffe, v23, v2
	s_wait_alu 0xfffd
	v_cndmask_b32_e32 v21, v22, v21, vcc_lo
	v_cmp_ne_u32_e32 vcc_lo, 0, v0
	v_sub_nc_u32_e32 v22, 0x3f1, v24
	v_add_nc_u32_e32 v24, 0xfffffc10, v24
	v_or_b32_e32 v25, 0x1000, v2
	v_and_b32_e32 v23, 7, v21
	s_wait_alu 0xfffd
	v_cndmask_b32_e64 v0, 0, 1, vcc_lo
	v_cmp_gt_i32_e32 vcc_lo, 31, v17
	v_med3_i32 v22, v22, 0, 13
	v_lshrrev_b32_e32 v17, 16, v1
	v_cmp_eq_u32_e64 s0, 3, v23
	v_lshl_or_b32 v0, v0, 9, 0x7c00
	s_wait_alu 0xfffd
	v_cndmask_b32_e32 v9, 0x7c00, v9, vcc_lo
	v_cmp_lt_i32_e32 vcc_lo, 5, v23
	v_lshrrev_b32_e32 v23, v22, v25
	s_wait_alu 0xf1ff
	s_delay_alu instid0(VALU_DEP_3) | instskip(SKIP_3) | instid1(VALU_DEP_3)
	v_cndmask_b32_e64 v9, v9, v0, s1
	v_lshrrev_b32_e32 v0, 2, v21
	s_or_b32 vcc_lo, s0, vcc_lo
	v_lshlrev_b32_e32 v1, v22, v23
	v_and_or_b32 v9, 0x8000, v17, v9
	s_wait_alu 0xfffe
	v_add_co_ci_u32_e32 v21, vcc_lo, 0, v0, vcc_lo
	v_cmp_ne_u32_e32 vcc_lo, 0, v20
	s_wait_alu 0xfffd
	v_cndmask_b32_e64 v20, 0, 1, vcc_lo
	v_cmp_ne_u32_e32 vcc_lo, v1, v25
	v_mul_f64_e32 v[0:1], s[8:9], v[13:14]
	v_and_or_b32 v7, 0x1ff, v8, v7
	s_delay_alu instid0(VALU_DEP_4) | instskip(SKIP_3) | instid1(VALU_DEP_2)
	v_lshl_or_b32 v14, v20, 9, 0x7c00
	s_wait_alu 0xfffd
	v_cndmask_b32_e64 v22, 0, 1, vcc_lo
	v_cmp_gt_i32_e32 vcc_lo, 31, v18
	v_or_b32_e32 v20, v23, v22
	s_wait_alu 0xfffd
	v_cndmask_b32_e32 v13, 0x7c00, v21, vcc_lo
	v_cmp_eq_u32_e32 vcc_lo, 0x40f, v18
	v_lshl_or_b32 v21, v24, 12, v2
	s_wait_alu 0xfffd
	s_delay_alu instid0(VALU_DEP_3) | instskip(SKIP_3) | instid1(VALU_DEP_4)
	v_cndmask_b32_e32 v18, v13, v14, vcc_lo
	v_cmp_gt_i32_e32 vcc_lo, 1, v24
	v_mul_f64_e32 v[13:14], s[8:9], v[15:16]
	v_lshrrev_b32_e32 v16, 8, v8
	v_and_or_b32 v18, 0x8000, v10, v18
	s_wait_alu 0xfffd
	v_cndmask_b32_e32 v15, v21, v20, vcc_lo
	v_cmp_ne_u32_e32 vcc_lo, 0, v7
	v_bfe_u32 v20, v8, 20, 11
	v_lshrrev_b32_e32 v8, 16, v8
	s_delay_alu instid0(VALU_DEP_4) | instskip(SKIP_3) | instid1(VALU_DEP_3)
	v_and_b32_e32 v17, 7, v15
	s_wait_alu 0xfffd
	v_cndmask_b32_e64 v7, 0, 1, vcc_lo
	v_lshrrev_b32_e32 v15, 2, v15
	v_cmp_lt_i32_e32 vcc_lo, 5, v17
	s_delay_alu instid0(VALU_DEP_3) | instskip(SKIP_3) | instid1(VALU_DEP_4)
	v_and_or_b32 v7, 0xffe, v16, v7
	v_sub_nc_u32_e32 v16, 0x3f1, v20
	v_cmp_eq_u32_e64 s0, 3, v17
	v_add_nc_u32_e32 v20, 0xfffffc10, v20
	v_or_b32_e32 v22, 0x1000, v7
	s_delay_alu instid0(VALU_DEP_4) | instskip(NEXT) | instid1(VALU_DEP_4)
	v_med3_i32 v16, v16, 0, 13
	s_or_b32 vcc_lo, s0, vcc_lo
	v_and_or_b32 v0, 0x1ff, v1, v0
	s_wait_alu 0xfffe
	v_add_co_ci_u32_e32 v15, vcc_lo, 0, v15, vcc_lo
	v_lshrrev_b32_e32 v17, v16, v22
	v_cmp_ne_u32_e32 vcc_lo, 0, v2
	v_bfe_u32 v23, v1, 20, 11
	s_delay_alu instid0(VALU_DEP_3) | instskip(SKIP_3) | instid1(VALU_DEP_2)
	v_lshlrev_b32_e32 v16, v16, v17
	s_wait_alu 0xfffd
	v_cndmask_b32_e64 v2, 0, 1, vcc_lo
	v_cmp_gt_i32_e32 vcc_lo, 31, v24
	v_lshl_or_b32 v2, v2, 9, 0x7c00
	s_wait_alu 0xfffd
	v_cndmask_b32_e32 v15, 0x7c00, v15, vcc_lo
	v_cmp_ne_u32_e32 vcc_lo, v16, v22
	v_and_or_b32 v13, 0x1ff, v14, v13
	v_lshrrev_b32_e32 v22, 8, v1
	v_lshrrev_b32_e32 v25, 8, v14
	v_bfe_u32 v26, v14, 20, 11
	s_wait_alu 0xfffd
	v_cndmask_b32_e64 v16, 0, 1, vcc_lo
	v_cmp_ne_u32_e32 vcc_lo, 0, v0
	v_lshrrev_b32_e32 v1, 16, v1
	s_delay_alu instid0(VALU_DEP_3) | instskip(SKIP_4) | instid1(VALU_DEP_3)
	v_or_b32_e32 v16, v17, v16
	s_wait_alu 0xfffd
	v_cndmask_b32_e64 v0, 0, 1, vcc_lo
	v_cmp_ne_u32_e32 vcc_lo, 0, v13
	v_lshl_or_b32 v17, v20, 12, v7
	v_and_or_b32 v0, 0xffe, v22, v0
	v_sub_nc_u32_e32 v22, 0x3f1, v23
	s_wait_alu 0xfffd
	v_cndmask_b32_e64 v13, 0, 1, vcc_lo
	v_cmp_gt_i32_e32 vcc_lo, 1, v20
	s_delay_alu instid0(VALU_DEP_3) | instskip(NEXT) | instid1(VALU_DEP_3)
	v_med3_i32 v22, v22, 0, 13
	v_and_or_b32 v13, 0xffe, v25, v13
	s_wait_alu 0xfffd
	v_cndmask_b32_e32 v16, v17, v16, vcc_lo
	v_or_b32_e32 v17, 0x1000, v0
	v_sub_nc_u32_e32 v25, 0x3f1, v26
	v_cmp_eq_u32_e32 vcc_lo, 0x40f, v24
	v_or_b32_e32 v27, 0x1000, v13
	v_and_b32_e32 v24, 7, v16
	v_lshrrev_b32_e32 v16, 2, v16
	v_med3_i32 v25, v25, 0, 13
	s_wait_alu 0xfffd
	v_cndmask_b32_e32 v2, v15, v2, vcc_lo
	v_lshrrev_b32_e32 v15, v22, v17
	v_cmp_lt_i32_e32 vcc_lo, 5, v24
	v_cmp_eq_u32_e64 s0, 3, v24
	v_lshrrev_b32_e32 v24, v25, v27
	v_and_or_b32 v2, 0x8000, v3, v2
	v_lshlrev_b32_e32 v22, v22, v15
	s_delay_alu instid0(VALU_DEP_4) | instskip(SKIP_2) | instid1(VALU_DEP_2)
	s_or_b32 vcc_lo, s0, vcc_lo
	s_wait_alu 0xfffe
	v_add_co_ci_u32_e32 v16, vcc_lo, 0, v16, vcc_lo
	v_cmp_ne_u32_e64 s1, v22, v17
	v_add_nc_u32_e32 v22, 0xfffffc10, v23
	v_lshlrev_b32_e32 v23, v25, v24
	v_add_nc_u32_e32 v25, 0xfffffc10, v26
	v_and_b32_e32 v2, 0xffff, v2
	s_wait_alu 0xf1ff
	v_cndmask_b32_e64 v17, 0, 1, s1
	v_cmp_ne_u32_e32 vcc_lo, v23, v27
	s_delay_alu instid0(VALU_DEP_2)
	v_or_b32_e32 v15, v15, v17
	v_lshl_or_b32 v17, v22, 12, v0
	s_wait_alu 0xfffd
	v_cndmask_b32_e64 v23, 0, 1, vcc_lo
	v_cmp_ne_u32_e32 vcc_lo, 0, v7
	s_wait_alu 0xfffd
	v_cndmask_b32_e64 v7, 0, 1, vcc_lo
	v_cmp_gt_i32_e32 vcc_lo, 1, v22
	s_delay_alu instid0(VALU_DEP_2)
	v_lshl_or_b32 v7, v7, 9, 0x7c00
	s_wait_alu 0xfffd
	v_cndmask_b32_e32 v15, v17, v15, vcc_lo
	v_cmp_gt_i32_e32 vcc_lo, 31, v20
	v_or_b32_e32 v17, v24, v23
	v_lshl_or_b32 v23, v25, 12, v13
	s_delay_alu instid0(VALU_DEP_4) | instskip(SKIP_3) | instid1(VALU_DEP_3)
	v_and_b32_e32 v24, 7, v15
	s_wait_alu 0xfffd
	v_cndmask_b32_e32 v16, 0x7c00, v16, vcc_lo
	v_cmp_gt_i32_e32 vcc_lo, 1, v25
	v_cmp_eq_u32_e64 s0, 3, v24
	s_wait_alu 0xfffd
	v_cndmask_b32_e32 v17, v23, v17, vcc_lo
	v_cmp_eq_u32_e32 vcc_lo, 0x40f, v20
	s_delay_alu instid0(VALU_DEP_2) | instskip(SKIP_3) | instid1(VALU_DEP_3)
	v_and_b32_e32 v3, 7, v17
	s_wait_alu 0xfffd
	v_cndmask_b32_e32 v7, v16, v7, vcc_lo
	v_cmp_lt_i32_e32 vcc_lo, 5, v24
	v_cmp_lt_i32_e64 s1, 5, v3
	s_delay_alu instid0(VALU_DEP_3) | instskip(SKIP_3) | instid1(VALU_DEP_3)
	v_and_or_b32 v7, 0x8000, v8, v7
	v_lshrrev_b32_e32 v8, 2, v15
	s_or_b32 vcc_lo, s0, vcc_lo
	v_cmp_eq_u32_e64 s2, 3, v3
	v_lshl_or_b32 v7, v7, 16, v2
	s_wait_alu 0xfffe
	v_add_co_ci_u32_e32 v3, vcc_lo, 0, v8, vcc_lo
	v_cmp_ne_u32_e32 vcc_lo, 0, v0
	v_lshrrev_b32_e32 v8, 2, v17
	s_wait_alu 0xfffd
	v_cndmask_b32_e64 v0, 0, 1, vcc_lo
	s_or_b32 vcc_lo, s2, s1
	s_wait_alu 0xfffe
	v_add_co_ci_u32_e32 v8, vcc_lo, 0, v8, vcc_lo
	v_cmp_ne_u32_e32 vcc_lo, 0, v13
	v_lshl_or_b32 v0, v0, 9, 0x7c00
	s_wait_alu 0xfffd
	v_cndmask_b32_e64 v13, 0, 1, vcc_lo
	v_cmp_gt_i32_e32 vcc_lo, 31, v22
	s_delay_alu instid0(VALU_DEP_2)
	v_lshl_or_b32 v13, v13, 9, 0x7c00
	s_wait_alu 0xfffd
	v_cndmask_b32_e32 v3, 0x7c00, v3, vcc_lo
	v_cmp_gt_i32_e32 vcc_lo, 31, v25
	s_wait_alu 0xfffd
	v_cndmask_b32_e32 v8, 0x7c00, v8, vcc_lo
	v_cmp_eq_u32_e32 vcc_lo, 0x40f, v22
	v_and_b32_e32 v21, 0xffff, v9
	v_mad_co_u64_u32 v[9:10], null, 0xfffff68c, s4, v[11:12]
	s_wait_alu 0xfffd
	v_cndmask_b32_e32 v0, v3, v0, vcc_lo
	v_cmp_eq_u32_e32 vcc_lo, 0x40f, v25
	s_delay_alu instid0(VALU_DEP_2)
	v_and_or_b32 v0, 0x8000, v1, v0
	s_wait_alu 0xfffd
	v_cndmask_b32_e32 v3, v8, v13, vcc_lo
	v_lshrrev_b32_e32 v8, 16, v14
	v_add_nc_u32_e32 v10, s3, v10
	v_lshl_or_b32 v13, v18, 16, v21
	s_delay_alu instid0(VALU_DEP_3) | instskip(SKIP_4) | instid1(VALU_DEP_3)
	v_and_or_b32 v2, 0x8000, v8, v3
	v_and_b32_e32 v3, 0xffff, v0
	v_add_co_u32 v0, vcc_lo, v9, s6
	s_wait_alu 0xfffd
	v_add_co_ci_u32_e32 v1, vcc_lo, s7, v10, vcc_lo
	v_lshl_or_b32 v8, v2, 16, v3
	s_delay_alu instid0(VALU_DEP_3) | instskip(SKIP_1) | instid1(VALU_DEP_3)
	v_add_co_u32 v2, vcc_lo, v0, s6
	s_wait_alu 0xfffd
	v_add_co_ci_u32_e32 v3, vcc_lo, s7, v1, vcc_lo
	global_store_b32 v[5:6], v19, off
	global_store_b32 v[11:12], v4, off
	;; [unrolled: 1-line block ×5, first 2 shown]
.LBB0_18:
	s_nop 0
	s_sendmsg sendmsg(MSG_DEALLOC_VGPRS)
	s_endpgm
	.section	.rodata,"a",@progbits
	.p2align	6, 0x0
	.amdhsa_kernel bluestein_single_fwd_len1089_dim1_half_op_CI_CI
		.amdhsa_group_segment_fixed_size 4356
		.amdhsa_private_segment_fixed_size 0
		.amdhsa_kernarg_size 104
		.amdhsa_user_sgpr_count 2
		.amdhsa_user_sgpr_dispatch_ptr 0
		.amdhsa_user_sgpr_queue_ptr 0
		.amdhsa_user_sgpr_kernarg_segment_ptr 1
		.amdhsa_user_sgpr_dispatch_id 0
		.amdhsa_user_sgpr_private_segment_size 0
		.amdhsa_wavefront_size32 1
		.amdhsa_uses_dynamic_stack 0
		.amdhsa_enable_private_segment 0
		.amdhsa_system_sgpr_workgroup_id_x 1
		.amdhsa_system_sgpr_workgroup_id_y 0
		.amdhsa_system_sgpr_workgroup_id_z 0
		.amdhsa_system_sgpr_workgroup_info 0
		.amdhsa_system_vgpr_workitem_id 0
		.amdhsa_next_free_vgpr 198
		.amdhsa_next_free_sgpr 20
		.amdhsa_reserve_vcc 1
		.amdhsa_float_round_mode_32 0
		.amdhsa_float_round_mode_16_64 0
		.amdhsa_float_denorm_mode_32 3
		.amdhsa_float_denorm_mode_16_64 3
		.amdhsa_fp16_overflow 0
		.amdhsa_workgroup_processor_mode 1
		.amdhsa_memory_ordered 1
		.amdhsa_forward_progress 0
		.amdhsa_round_robin_scheduling 0
		.amdhsa_exception_fp_ieee_invalid_op 0
		.amdhsa_exception_fp_denorm_src 0
		.amdhsa_exception_fp_ieee_div_zero 0
		.amdhsa_exception_fp_ieee_overflow 0
		.amdhsa_exception_fp_ieee_underflow 0
		.amdhsa_exception_fp_ieee_inexact 0
		.amdhsa_exception_int_div_zero 0
	.end_amdhsa_kernel
	.text
.Lfunc_end0:
	.size	bluestein_single_fwd_len1089_dim1_half_op_CI_CI, .Lfunc_end0-bluestein_single_fwd_len1089_dim1_half_op_CI_CI
                                        ; -- End function
	.section	.AMDGPU.csdata,"",@progbits
; Kernel info:
; codeLenInByte = 22332
; NumSgprs: 22
; NumVgprs: 198
; ScratchSize: 0
; MemoryBound: 0
; FloatMode: 240
; IeeeMode: 1
; LDSByteSize: 4356 bytes/workgroup (compile time only)
; SGPRBlocks: 2
; VGPRBlocks: 24
; NumSGPRsForWavesPerEU: 22
; NumVGPRsForWavesPerEU: 198
; Occupancy: 7
; WaveLimiterHint : 1
; COMPUTE_PGM_RSRC2:SCRATCH_EN: 0
; COMPUTE_PGM_RSRC2:USER_SGPR: 2
; COMPUTE_PGM_RSRC2:TRAP_HANDLER: 0
; COMPUTE_PGM_RSRC2:TGID_X_EN: 1
; COMPUTE_PGM_RSRC2:TGID_Y_EN: 0
; COMPUTE_PGM_RSRC2:TGID_Z_EN: 0
; COMPUTE_PGM_RSRC2:TIDIG_COMP_CNT: 0
	.text
	.p2alignl 7, 3214868480
	.fill 96, 4, 3214868480
	.type	__hip_cuid_c5d7afb6dfb79f5c,@object ; @__hip_cuid_c5d7afb6dfb79f5c
	.section	.bss,"aw",@nobits
	.globl	__hip_cuid_c5d7afb6dfb79f5c
__hip_cuid_c5d7afb6dfb79f5c:
	.byte	0                               ; 0x0
	.size	__hip_cuid_c5d7afb6dfb79f5c, 1

	.ident	"AMD clang version 19.0.0git (https://github.com/RadeonOpenCompute/llvm-project roc-6.4.0 25133 c7fe45cf4b819c5991fe208aaa96edf142730f1d)"
	.section	".note.GNU-stack","",@progbits
	.addrsig
	.addrsig_sym __hip_cuid_c5d7afb6dfb79f5c
	.amdgpu_metadata
---
amdhsa.kernels:
  - .args:
      - .actual_access:  read_only
        .address_space:  global
        .offset:         0
        .size:           8
        .value_kind:     global_buffer
      - .actual_access:  read_only
        .address_space:  global
        .offset:         8
        .size:           8
        .value_kind:     global_buffer
      - .actual_access:  read_only
        .address_space:  global
        .offset:         16
        .size:           8
        .value_kind:     global_buffer
      - .actual_access:  read_only
        .address_space:  global
        .offset:         24
        .size:           8
        .value_kind:     global_buffer
      - .actual_access:  read_only
        .address_space:  global
        .offset:         32
        .size:           8
        .value_kind:     global_buffer
      - .offset:         40
        .size:           8
        .value_kind:     by_value
      - .address_space:  global
        .offset:         48
        .size:           8
        .value_kind:     global_buffer
      - .address_space:  global
        .offset:         56
        .size:           8
        .value_kind:     global_buffer
      - .address_space:  global
        .offset:         64
        .size:           8
        .value_kind:     global_buffer
      - .address_space:  global
        .offset:         72
        .size:           8
        .value_kind:     global_buffer
      - .offset:         80
        .size:           4
        .value_kind:     by_value
      - .address_space:  global
        .offset:         88
        .size:           8
        .value_kind:     global_buffer
      - .address_space:  global
        .offset:         96
        .size:           8
        .value_kind:     global_buffer
    .group_segment_fixed_size: 4356
    .kernarg_segment_align: 8
    .kernarg_segment_size: 104
    .language:       OpenCL C
    .language_version:
      - 2
      - 0
    .max_flat_workgroup_size: 121
    .name:           bluestein_single_fwd_len1089_dim1_half_op_CI_CI
    .private_segment_fixed_size: 0
    .sgpr_count:     22
    .sgpr_spill_count: 0
    .symbol:         bluestein_single_fwd_len1089_dim1_half_op_CI_CI.kd
    .uniform_work_group_size: 1
    .uses_dynamic_stack: false
    .vgpr_count:     198
    .vgpr_spill_count: 0
    .wavefront_size: 32
    .workgroup_processor_mode: 1
amdhsa.target:   amdgcn-amd-amdhsa--gfx1201
amdhsa.version:
  - 1
  - 2
...

	.end_amdgpu_metadata
